;; amdgpu-corpus repo=zjin-lcf/HeCBench kind=compiled arch=gfx906 opt=O3
	.amdgcn_target "amdgcn-amd-amdhsa--gfx906"
	.amdhsa_code_object_version 6
	.text
	.protected	_Z21k_forward_rush_larsenPdddPKdi ; -- Begin function _Z21k_forward_rush_larsenPdddPKdi
	.globl	_Z21k_forward_rush_larsenPdddPKdi
	.p2align	8
	.type	_Z21k_forward_rush_larsenPdddPKdi,@function
_Z21k_forward_rush_larsenPdddPKdi:      ; @_Z21k_forward_rush_larsenPdddPKdi
; %bb.0:
	s_mov_b64 s[58:59], s[2:3]
	s_mov_b64 s[56:57], s[0:1]
	s_load_dword s0, s[4:5], 0x34
	s_load_dword s10, s[4:5], 0x20
	s_add_u32 s56, s56, s7
	s_addc_u32 s57, s57, 0
	s_waitcnt lgkmcnt(0)
	s_and_b32 s0, s0, 0xffff
	s_mul_i32 s6, s6, s0
	v_add_u32_e32 v4, s6, v0
	v_cmp_gt_i32_e32 vcc, s10, v4
	s_and_saveexec_b64 s[0:1], vcc
	s_cbranch_execz .LBB0_86
; %bb.1:
	s_add_i32 s0, s10, s10
	v_add_u32_e32 v3, s0, v4
	v_add_u32_e32 v12, s10, v3
	;; [unrolled: 1-line block ×10, first 2 shown]
	s_lshl_b32 s2, s10, 1
	v_add_u32_e32 v58, s2, v21
	v_add_u32_e32 v25, s2, v58
	v_ashrrev_i32_e32 v26, 31, v25
	v_mad_u64_u32 v[34:35], s[0:1], s10, -3, v[25:26]
	s_load_dwordx8 s[12:19], s[4:5], 0x0
	s_mov_b32 s0, 0
	v_add_u32_e32 v33, s2, v34
	v_add_u32_e32 v5, s2, v33
	;; [unrolled: 1-line block ×3, first 2 shown]
	v_ashrrev_i32_e32 v2, 31, v1
	v_lshlrev_b64 v[39:40], 3, v[1:2]
	s_waitcnt lgkmcnt(0)
	v_mov_b32_e32 v2, s13
	v_add_co_u32_e32 v17, vcc, s12, v39
	v_addc_co_u32_e32 v18, vcc, v2, v40, vcc
	buffer_store_dword v17, off, s[56:59], 0 offset:392 ; 4-byte Folded Spill
	s_nop 0
	buffer_store_dword v18, off, s[56:59], 0 offset:396 ; 4-byte Folded Spill
	v_ashrrev_i32_e32 v6, 31, v5
	v_add_u32_e32 v43, s10, v1
	v_lshlrev_b64 v[37:38], 3, v[5:6]
	v_ashrrev_i32_e32 v44, 31, v43
	v_mov_b32_e32 v8, s13
	v_lshlrev_b64 v[41:42], 3, v[43:44]
	v_add_co_u32_e32 v5, vcc, s12, v37
	v_addc_co_u32_e32 v6, vcc, v8, v38, vcc
	v_add_co_u32_e32 v1, vcc, s12, v41
	v_addc_co_u32_e32 v2, vcc, v2, v42, vcc
	s_mov_b32 s1, 0x401c0000
	s_mov_b32 s4, 0x3b39803f
	;; [unrolled: 1-line block ×21, first 2 shown]
	v_mov_b32_e32 v10, 0x407c2000
	v_mov_b32_e32 v15, 0x40180000
	s_ashr_i32 s11, s10, 31
	v_ashrrev_i32_e32 v59, 31, v58
	global_load_dwordx2 v[45:46], v[17:18], off
	s_nop 0
	buffer_store_dword v1, off, s[56:59], 0 offset:400 ; 4-byte Folded Spill
	s_nop 0
	buffer_store_dword v2, off, s[56:59], 0 offset:404 ; 4-byte Folded Spill
	global_load_dwordx2 v[1:2], v[1:2], off
	s_waitcnt vmcnt(0)
	buffer_store_dword v1, off, s[56:59], 0 offset:96 ; 4-byte Folded Spill
	s_nop 0
	buffer_store_dword v2, off, s[56:59], 0 offset:100 ; 4-byte Folded Spill
	buffer_store_dword v5, off, s[56:59], 0 offset:408 ; 4-byte Folded Spill
	s_nop 0
	buffer_store_dword v6, off, s[56:59], 0 offset:412 ; 4-byte Folded Spill
	global_load_dwordx2 v[1:2], v[5:6], off
	s_waitcnt vmcnt(0)
	buffer_store_dword v1, off, s[56:59], 0 offset:40 ; 4-byte Folded Spill
	s_nop 0
	buffer_store_dword v2, off, s[56:59], 0 offset:44 ; 4-byte Folded Spill
	v_div_scale_f64 v[1:2], s[2:3], s[0:1], s[0:1], v[45:46]
	s_mov_b32 s2, 0xfefa39ef
	s_mov_b32 s3, 0xbfe62e42
	v_rcp_f64_e32 v[5:6], v[1:2]
	v_fma_f64 v[17:18], -v[1:2], v[5:6], 1.0
	v_fma_f64 v[5:6], v[5:6], v[17:18], v[5:6]
	v_div_scale_f64 v[17:18], vcc, v[45:46], s[0:1], v[45:46]
	v_fma_f64 v[19:20], -v[1:2], v[5:6], 1.0
	v_fma_f64 v[5:6], v[5:6], v[19:20], v[5:6]
	v_mul_f64 v[19:20], v[17:18], v[5:6]
	v_fma_f64 v[1:2], -v[1:2], v[19:20], v[17:18]
	v_div_fmas_f64 v[1:2], v[1:2], v[5:6], v[19:20]
	v_mov_b32_e32 v19, s20
	v_mov_b32_e32 v20, s21
	s_mov_b32 s20, 0x7c89e6b0
	s_mov_b32 s21, 0x3efa0199
	v_div_fixup_f64 v[1:2], v[1:2], s[0:1], v[45:46]
	s_mov_b32 s0, 0x6db6db6e
	s_mov_b32 s1, 0xc00db6db
	buffer_store_dword v1, off, s[56:59], 0 offset:224 ; 4-byte Folded Spill
	s_nop 0
	buffer_store_dword v2, off, s[56:59], 0 offset:228 ; 4-byte Folded Spill
	v_add_f64 v[1:2], -v[1:2], s[0:1]
	s_mov_b32 s0, 0x652b82fe
	s_mov_b32 s1, 0x3ff71547
	v_mul_f64 v[5:6], v[1:2], s[0:1]
	v_rndne_f64_e32 v[5:6], v[5:6]
	v_fma_f64 v[17:18], v[5:6], s[2:3], v[1:2]
	v_fma_f64 v[17:18], v[5:6], s[4:5], v[17:18]
	v_cvt_i32_f64_e32 v5, v[5:6]
	v_fma_f64 v[23:24], v[17:18], s[6:7], v[19:20]
	v_fma_f64 v[23:24], v[17:18], v[23:24], s[8:9]
	;; [unrolled: 1-line block ×9, first 2 shown]
	v_fma_f64 v[23:24], v[17:18], v[23:24], 1.0
	v_fma_f64 v[17:18], v[17:18], v[23:24], 1.0
	v_ldexp_f64 v[5:6], v[17:18], v5
	v_add_f64 v[5:6], v[5:6], 1.0
	v_div_scale_f64 v[17:18], s[36:37], v[5:6], v[5:6], 1.0
	s_mov_b32 s36, 0
	s_mov_b32 s37, 0x40240000
	v_rcp_f64_e32 v[23:24], v[17:18]
	v_fma_f64 v[27:28], -v[17:18], v[23:24], 1.0
	v_fma_f64 v[23:24], v[23:24], v[27:28], v[23:24]
	v_fma_f64 v[27:28], -v[17:18], v[23:24], 1.0
	v_fma_f64 v[23:24], v[23:24], v[27:28], v[23:24]
	v_div_scale_f64 v[27:28], vcc, 1.0, v[5:6], 1.0
	v_mul_f64 v[29:30], v[27:28], v[23:24]
	v_fma_f64 v[17:18], -v[17:18], v[29:30], v[27:28]
	s_nop 1
	v_div_fmas_f64 v[17:18], v[17:18], v[23:24], v[29:30]
	v_div_scale_f64 v[23:24], s[38:39], s[36:37], s[36:37], v[45:46]
	v_div_fixup_f64 v[5:6], v[17:18], v[5:6], 1.0
	v_rcp_f64_e32 v[27:28], v[23:24]
	v_fma_f64 v[29:30], -v[23:24], v[27:28], 1.0
	v_fma_f64 v[27:28], v[27:28], v[29:30], v[27:28]
	v_fma_f64 v[29:30], -v[23:24], v[27:28], 1.0
	v_fma_f64 v[27:28], v[27:28], v[29:30], v[27:28]
	v_div_scale_f64 v[29:30], vcc, v[45:46], s[36:37], v[45:46]
	v_mul_f64 v[31:32], v[29:30], v[27:28]
	v_fma_f64 v[23:24], -v[23:24], v[31:32], v[29:30]
	s_nop 1
	v_div_fmas_f64 v[23:24], v[23:24], v[27:28], v[31:32]
	v_div_fixup_f64 v[23:24], v[23:24], s[36:37], v[45:46]
	buffer_store_dword v23, off, s[56:59], 0 offset:144 ; 4-byte Folded Spill
	s_nop 0
	buffer_store_dword v24, off, s[56:59], 0 offset:148 ; 4-byte Folded Spill
	s_mov_b32 s36, 0
	s_mov_b32 s37, 0xc0120000
	buffer_store_dword v45, off, s[56:59], 0 offset:24 ; 4-byte Folded Spill
	s_nop 0
	buffer_store_dword v46, off, s[56:59], 0 offset:28 ; 4-byte Folded Spill
	v_add_f64 v[23:24], -v[23:24], s[36:37]
	s_mov_b32 s36, 0
	s_mov_b32 s37, 0x407c2000
	v_mul_f64 v[27:28], v[23:24], s[0:1]
	v_rndne_f64_e32 v[27:28], v[27:28]
	v_fma_f64 v[29:30], v[27:28], s[2:3], v[23:24]
	v_cvt_i32_f64_e32 v8, v[27:28]
	v_fma_f64 v[29:30], v[27:28], s[4:5], v[29:30]
	v_fma_f64 v[31:32], v[29:30], s[6:7], v[19:20]
	;; [unrolled: 1-line block ×10, first 2 shown]
	v_fma_f64 v[31:32], v[29:30], v[31:32], 1.0
	v_fma_f64 v[29:30], v[29:30], v[31:32], 1.0
	v_ldexp_f64 v[27:28], v[29:30], v8
	v_add_f64 v[27:28], v[27:28], 1.0
	v_div_scale_f64 v[29:30], s[38:39], v[27:28], v[27:28], s[36:37]
	s_mov_b32 s38, 0x590b2162
	s_mov_b32 s39, 0x3fb642c8
	v_rcp_f64_e32 v[31:32], v[29:30]
	v_fma_f64 v[35:36], -v[29:30], v[31:32], 1.0
	v_fma_f64 v[31:32], v[31:32], v[35:36], v[31:32]
	v_fma_f64 v[35:36], -v[29:30], v[31:32], 1.0
	v_fma_f64 v[31:32], v[31:32], v[35:36], v[31:32]
	v_div_scale_f64 v[35:36], vcc, s[36:37], v[27:28], s[36:37]
	v_mul_f64 v[49:50], v[35:36], v[31:32]
	v_fma_f64 v[29:30], -v[29:30], v[49:50], v[35:36]
	s_nop 1
	v_div_fmas_f64 v[29:30], v[29:30], v[31:32], v[49:50]
	v_mul_f64 v[31:32], v[45:46], s[38:39]
	v_mul_f64 v[35:36], v[31:32], s[0:1]
	s_mov_b32 s0, 0x5e29ac20
	s_mov_b32 s1, 0x402b29a3
	v_div_fixup_f64 v[17:18], v[29:30], v[27:28], s[36:37]
	v_rndne_f64_e32 v[35:36], v[35:36]
	v_fma_f64 v[49:50], v[35:36], s[2:3], v[31:32]
	v_cvt_i32_f64_e32 v8, v[35:36]
	v_fma_f64 v[49:50], v[35:36], s[4:5], v[49:50]
	v_fma_f64 v[19:20], v[49:50], s[6:7], v[19:20]
	s_mov_b32 s6, 0
	s_mov_b32 s7, 0x40900000
	v_fma_f64 v[19:20], v[49:50], v[19:20], s[8:9]
	s_mov_b32 s8, 0
	s_mov_b32 s9, 0xc090cc00
	v_cmp_ngt_f64_e64 s[4:5], s[8:9], v[23:24]
	v_fma_f64 v[19:20], v[49:50], v[19:20], s[20:21]
	v_fma_f64 v[19:20], v[49:50], v[19:20], s[22:23]
	;; [unrolled: 1-line block ×7, first 2 shown]
	v_fma_f64 v[19:20], v[49:50], v[19:20], 1.0
	v_fma_f64 v[19:20], v[49:50], v[19:20], 1.0
	v_ldexp_f64 v[19:20], v[19:20], v8
	v_mov_b32_e32 v8, 0x3ff00000
	v_fma_f64 v[19:20], v[19:20], s[0:1], 1.0
	s_mov_b32 s0, 0
	s_mov_b32 s1, 0x40180000
	v_div_scale_f64 v[35:36], s[2:3], v[19:20], v[19:20], s[0:1]
	v_cmp_nlt_f64_e64 s[2:3], s[6:7], v[23:24]
	v_cndmask_b32_e64 v13, 0, v18, s[2:3]
	v_cndmask_b32_e64 v18, v10, v13, s[4:5]
	v_ashrrev_i32_e32 v13, 31, v12
	v_lshlrev_b64 v[12:13], 3, v[12:13]
	v_ashrrev_i32_e32 v10, 31, v9
	v_rcp_f64_e32 v[49:50], v[35:36]
	v_fma_f64 v[54:55], -v[35:36], v[49:50], 1.0
	v_fma_f64 v[49:50], v[49:50], v[54:55], v[49:50]
	v_fma_f64 v[54:55], -v[35:36], v[49:50], 1.0
	v_fma_f64 v[49:50], v[49:50], v[54:55], v[49:50]
	v_div_scale_f64 v[54:55], vcc, s[0:1], v[19:20], s[0:1]
	v_mul_f64 v[56:57], v[54:55], v[49:50]
	v_fma_f64 v[35:36], -v[35:36], v[56:57], v[54:55]
	s_nop 1
	v_div_fmas_f64 v[35:36], v[35:36], v[49:50], v[56:57]
	v_cmp_nlt_f64_e32 vcc, s[6:7], v[1:2]
	v_cmp_nlt_f64_e64 s[6:7], s[6:7], v[31:32]
	v_cndmask_b32_e32 v6, 0, v6, vcc
	v_div_fixup_f64 v[19:20], v[35:36], v[19:20], s[0:1]
	v_cmp_ngt_f64_e64 s[0:1], s[8:9], v[1:2]
	v_cmp_ngt_f64_e64 s[8:9], s[8:9], v[31:32]
	v_ashrrev_i32_e32 v35, 31, v34
	v_cndmask_b32_e64 v20, 0, v20, s[6:7]
	s_and_b64 vcc, s[0:1], vcc
	v_cndmask_b32_e32 v1, 0, v5, vcc
	s_and_b64 vcc, s[4:5], s[2:3]
	v_ashrrev_i32_e32 v5, 31, v4
	v_cndmask_b32_e64 v2, v8, v6, s[0:1]
	v_cndmask_b32_e32 v17, 0, v17, vcc
	s_and_b64 vcc, s[8:9], s[6:7]
	v_lshlrev_b64 v[5:6], 3, v[4:5]
	v_cndmask_b32_e64 v20, v15, v20, s[8:9]
	v_cndmask_b32_e32 v19, 0, v19, vcc
	v_mul_f64 v[60:61], v[17:18], v[19:20]
	v_mov_b32_e32 v4, s13
	v_add_co_u32_e32 v19, vcc, s12, v5
	v_addc_co_u32_e32 v20, vcc, v4, v6, vcc
	v_ashrrev_i32_e32 v4, 31, v3
	v_lshlrev_b64 v[3:4], 3, v[3:4]
	v_mov_b32_e32 v8, s13
	v_add_co_u32_e32 v27, vcc, s12, v3
	v_addc_co_u32_e32 v28, vcc, v8, v4, vcc
	v_add_co_u32_e32 v23, vcc, s12, v12
	v_addc_co_u32_e32 v24, vcc, v8, v13, vcc
	s_lshl_b64 s[0:1], s[10:11], 3
	v_mov_b32_e32 v8, s1
	v_add_co_u32_e32 v17, vcc, s0, v19
	buffer_store_dword v8, off, s[56:59], 0 offset:104 ; 4-byte Folded Spill
	v_addc_co_u32_e32 v18, vcc, v20, v8, vcc
	buffer_store_dword v19, off, s[56:59], 0 offset:616 ; 4-byte Folded Spill
	s_nop 0
	buffer_store_dword v20, off, s[56:59], 0 offset:620 ; 4-byte Folded Spill
	v_ashrrev_i32_e32 v8, 31, v7
	v_ashrrev_i32_e32 v15, 31, v14
	global_load_dwordx2 v[19:20], v[19:20], off
	s_nop 0
	buffer_store_dword v17, off, s[56:59], 0 offset:376 ; 4-byte Folded Spill
	s_nop 0
	buffer_store_dword v18, off, s[56:59], 0 offset:380 ; 4-byte Folded Spill
	global_load_dwordx2 v[17:18], v[17:18], off
	s_waitcnt vmcnt(0)
	buffer_store_dword v17, off, s[56:59], 0 offset:8 ; 4-byte Folded Spill
	s_nop 0
	buffer_store_dword v18, off, s[56:59], 0 offset:12 ; 4-byte Folded Spill
	buffer_store_dword v27, off, s[56:59], 0 offset:352 ; 4-byte Folded Spill
	s_nop 0
	buffer_store_dword v28, off, s[56:59], 0 offset:356 ; 4-byte Folded Spill
	global_load_dwordx2 v[17:18], v[27:28], off
	s_waitcnt vmcnt(0)
	buffer_store_dword v17, off, s[56:59], 0 offset:168 ; 4-byte Folded Spill
	s_nop 0
	buffer_store_dword v18, off, s[56:59], 0 offset:172 ; 4-byte Folded Spill
	;; [unrolled: 8-line block ×3, first 2 shown]
	buffer_store_dword v19, off, s[56:59], 0 offset:248 ; 4-byte Folded Spill
	s_nop 0
	buffer_store_dword v20, off, s[56:59], 0 offset:252 ; 4-byte Folded Spill
	v_add_f64 v[19:20], v[1:2], -v[19:20]
	buffer_store_dword v19, off, s[56:59], 0 ; 4-byte Folded Spill
	s_nop 0
	buffer_store_dword v20, off, s[56:59], 0 offset:4 ; 4-byte Folded Spill
	v_div_scale_f64 v[1:2], s[2:3], v[60:61], v[60:61], v[19:20]
	v_rcp_f64_e32 v[17:18], v[1:2]
	v_fma_f64 v[23:24], -v[1:2], v[17:18], 1.0
	v_fma_f64 v[17:18], v[17:18], v[23:24], v[17:18]
	v_fma_f64 v[23:24], -v[1:2], v[17:18], 1.0
	v_fma_f64 v[17:18], v[17:18], v[23:24], v[17:18]
	v_div_scale_f64 v[23:24], vcc, v[19:20], v[60:61], v[19:20]
	v_mul_f64 v[30:31], v[23:24], v[17:18]
	v_fma_f64 v[1:2], -v[1:2], v[30:31], v[23:24]
	s_nop 1
	v_div_fmas_f64 v[1:2], v[1:2], v[17:18], v[30:31]
	buffer_store_dword v1, off, s[56:59], 0 offset:16 ; 4-byte Folded Spill
	s_nop 0
	buffer_store_dword v2, off, s[56:59], 0 offset:20 ; 4-byte Folded Spill
	v_div_scale_f64 v[1:2], s[2:3], v[60:61], v[60:61], -1.0
	v_rcp_f64_e32 v[17:18], v[1:2]
	v_fma_f64 v[23:24], -v[1:2], v[17:18], 1.0
	v_fma_f64 v[17:18], v[17:18], v[23:24], v[17:18]
	v_fma_f64 v[23:24], -v[1:2], v[17:18], 1.0
	v_fma_f64 v[17:18], v[17:18], v[23:24], v[17:18]
	v_div_scale_f64 v[23:24], vcc, -1.0, v[60:61], -1.0
	v_mul_f64 v[30:31], v[23:24], v[17:18]
	v_fma_f64 v[1:2], -v[1:2], v[30:31], v[23:24]
	v_ashrrev_i32_e32 v23, 31, v22
	s_nop 0
	v_div_fmas_f64 v[1:2], v[1:2], v[17:18], v[30:31]
	buffer_store_dword v1, off, s[56:59], 0 offset:56 ; 4-byte Folded Spill
	s_nop 0
	buffer_store_dword v2, off, s[56:59], 0 offset:60 ; 4-byte Folded Spill
	v_mov_b32_e32 v1, s19
	v_add_co_u32_e32 v5, vcc, s18, v5
	v_addc_co_u32_e32 v6, vcc, v1, v6, vcc
	v_add_co_u32_e32 v2, vcc, s18, v3
	v_addc_co_u32_e32 v3, vcc, v1, v4, vcc
	buffer_store_dword v5, off, s[56:59], 0 offset:64 ; 4-byte Folded Spill
	s_nop 0
	buffer_store_dword v6, off, s[56:59], 0 offset:68 ; 4-byte Folded Spill
	buffer_store_dword v2, off, s[56:59], 0 offset:32 ; 4-byte Folded Spill
	s_nop 0
	buffer_store_dword v3, off, s[56:59], 0 offset:36 ; 4-byte Folded Spill
	v_add_co_u32_e32 v2, vcc, s18, v12
	v_addc_co_u32_e32 v3, vcc, v1, v13, vcc
	v_ashrrev_i32_e32 v1, 31, v0
	v_lshlrev_b64 v[0:1], 3, v[0:1]
	buffer_store_dword v2, off, s[56:59], 0 offset:48 ; 4-byte Folded Spill
	s_nop 0
	buffer_store_dword v3, off, s[56:59], 0 offset:52 ; 4-byte Folded Spill
	v_mov_b32_e32 v2, s13
	v_add_co_u32_e32 v3, vcc, s12, v0
	v_addc_co_u32_e32 v4, vcc, v2, v1, vcc
	v_mov_b32_e32 v2, s19
	v_add_co_u32_e32 v0, vcc, s18, v0
	v_addc_co_u32_e32 v1, vcc, v2, v1, vcc
	buffer_store_dword v3, off, s[56:59], 0 offset:624 ; 4-byte Folded Spill
	s_nop 0
	buffer_store_dword v4, off, s[56:59], 0 offset:628 ; 4-byte Folded Spill
	buffer_store_dword v0, off, s[56:59], 0 offset:72 ; 4-byte Folded Spill
	s_nop 0
	buffer_store_dword v1, off, s[56:59], 0 offset:76 ; 4-byte Folded Spill
	v_lshlrev_b64 v[0:1], 3, v[7:8]
	v_mov_b32_e32 v2, s13
	v_add_co_u32_e32 v3, vcc, s12, v0
	v_addc_co_u32_e32 v4, vcc, v2, v1, vcc
	v_mov_b32_e32 v2, s19
	v_add_co_u32_e32 v0, vcc, s18, v0
	v_addc_co_u32_e32 v1, vcc, v2, v1, vcc
	buffer_store_dword v3, off, s[56:59], 0 offset:632 ; 4-byte Folded Spill
	s_nop 0
	buffer_store_dword v4, off, s[56:59], 0 offset:636 ; 4-byte Folded Spill
	buffer_store_dword v0, off, s[56:59], 0 offset:80 ; 4-byte Folded Spill
	s_nop 0
	buffer_store_dword v1, off, s[56:59], 0 offset:84 ; 4-byte Folded Spill
	v_lshlrev_b64 v[0:1], 3, v[9:10]
	v_mov_b32_e32 v2, s13
	v_add_co_u32_e32 v3, vcc, s12, v0
	v_addc_co_u32_e32 v4, vcc, v2, v1, vcc
	v_mov_b32_e32 v2, s19
	v_add_co_u32_e32 v0, vcc, s18, v0
	v_addc_co_u32_e32 v1, vcc, v2, v1, vcc
	buffer_store_dword v3, off, s[56:59], 0 offset:640 ; 4-byte Folded Spill
	s_nop 0
	buffer_store_dword v4, off, s[56:59], 0 offset:644 ; 4-byte Folded Spill
	buffer_store_dword v0, off, s[56:59], 0 offset:88 ; 4-byte Folded Spill
	s_nop 0
	buffer_store_dword v1, off, s[56:59], 0 offset:92 ; 4-byte Folded Spill
	v_ashrrev_i32_e32 v12, 31, v11
	v_lshlrev_b64 v[0:1], 3, v[11:12]
	v_mov_b32_e32 v2, s13
	v_add_co_u32_e32 v3, vcc, s12, v0
	v_addc_co_u32_e32 v4, vcc, v2, v1, vcc
	v_mov_b32_e32 v2, s19
	v_add_co_u32_e32 v0, vcc, s18, v0
	v_addc_co_u32_e32 v1, vcc, v2, v1, vcc
	buffer_store_dword v3, off, s[56:59], 0 offset:656 ; 4-byte Folded Spill
	s_nop 0
	buffer_store_dword v4, off, s[56:59], 0 offset:660 ; 4-byte Folded Spill
	buffer_store_dword v0, off, s[56:59], 0 offset:112 ; 4-byte Folded Spill
	s_nop 0
	buffer_store_dword v1, off, s[56:59], 0 offset:116 ; 4-byte Folded Spill
	v_lshlrev_b64 v[0:1], 3, v[14:15]
	v_mov_b32_e32 v2, s13
	v_add_co_u32_e32 v3, vcc, s12, v0
	v_addc_co_u32_e32 v4, vcc, v2, v1, vcc
	v_mov_b32_e32 v2, s19
	v_add_co_u32_e32 v0, vcc, s18, v0
	v_addc_co_u32_e32 v1, vcc, v2, v1, vcc
	buffer_store_dword v3, off, s[56:59], 0 offset:664 ; 4-byte Folded Spill
	s_nop 0
	buffer_store_dword v4, off, s[56:59], 0 offset:668 ; 4-byte Folded Spill
	buffer_store_dword v0, off, s[56:59], 0 offset:120 ; 4-byte Folded Spill
	s_nop 0
	buffer_store_dword v1, off, s[56:59], 0 offset:124 ; 4-byte Folded Spill
	v_ashrrev_i32_e32 v17, 31, v16
	;; [unrolled: 27-line block ×3, first 2 shown]
	v_lshlrev_b64 v[0:1], 3, v[21:22]
	v_mov_b32_e32 v2, s13
	v_add_co_u32_e32 v3, vcc, s12, v0
	v_addc_co_u32_e32 v4, vcc, v2, v1, vcc
	v_mov_b32_e32 v2, s19
	v_add_co_u32_e32 v0, vcc, s18, v0
	v_addc_co_u32_e32 v1, vcc, v2, v1, vcc
	buffer_store_dword v3, off, s[56:59], 0 offset:688 ; 4-byte Folded Spill
	s_nop 0
	buffer_store_dword v4, off, s[56:59], 0 offset:692 ; 4-byte Folded Spill
	buffer_store_dword v0, off, s[56:59], 0 offset:152 ; 4-byte Folded Spill
	s_nop 0
	buffer_store_dword v1, off, s[56:59], 0 offset:156 ; 4-byte Folded Spill
	v_lshlrev_b64 v[0:1], 3, v[58:59]
	v_mov_b32_e32 v2, s13
	v_add_co_u32_e32 v3, vcc, s12, v0
	v_addc_co_u32_e32 v4, vcc, v2, v1, vcc
	v_mov_b32_e32 v2, s19
	v_add_co_u32_e32 v0, vcc, s18, v0
	v_addc_co_u32_e32 v1, vcc, v2, v1, vcc
	buffer_store_dword v3, off, s[56:59], 0 offset:336 ; 4-byte Folded Spill
	s_nop 0
	buffer_store_dword v4, off, s[56:59], 0 offset:340 ; 4-byte Folded Spill
	buffer_store_dword v0, off, s[56:59], 0 offset:160 ; 4-byte Folded Spill
	s_nop 0
	buffer_store_dword v1, off, s[56:59], 0 offset:164 ; 4-byte Folded Spill
	;; [unrolled: 13-line block ×4, first 2 shown]
	v_ashrrev_i32_e32 v34, 31, v33
	v_lshlrev_b64 v[0:1], 3, v[33:34]
	v_mov_b32_e32 v2, s13
	v_add_co_u32_e32 v3, vcc, s12, v0
	v_addc_co_u32_e32 v4, vcc, v2, v1, vcc
	v_mov_b32_e32 v2, s19
	v_add_co_u32_e32 v0, vcc, s18, v0
	v_addc_co_u32_e32 v1, vcc, v2, v1, vcc
	buffer_store_dword v3, off, s[56:59], 0 offset:304 ; 4-byte Folded Spill
	s_nop 0
	buffer_store_dword v4, off, s[56:59], 0 offset:308 ; 4-byte Folded Spill
	buffer_store_dword v0, off, s[56:59], 0 offset:200 ; 4-byte Folded Spill
	s_nop 0
	buffer_store_dword v1, off, s[56:59], 0 offset:204 ; 4-byte Folded Spill
	v_mov_b32_e32 v0, s19
	v_add_co_u32_e32 v1, vcc, s18, v37
	v_addc_co_u32_e32 v2, vcc, v0, v38, vcc
	buffer_store_dword v1, off, s[56:59], 0 offset:208 ; 4-byte Folded Spill
	s_nop 0
	buffer_store_dword v2, off, s[56:59], 0 offset:212 ; 4-byte Folded Spill
	v_add_co_u32_e32 v1, vcc, s18, v39
	v_addc_co_u32_e32 v2, vcc, v0, v40, vcc
	buffer_store_dword v1, off, s[56:59], 0 offset:216 ; 4-byte Folded Spill
	s_nop 0
	buffer_store_dword v2, off, s[56:59], 0 offset:220 ; 4-byte Folded Spill
	;; [unrolled: 5-line block ×3, first 2 shown]
	v_add_u32_e32 v0, s10, v43
	v_ashrrev_i32_e32 v1, 31, v0
	v_lshlrev_b64 v[1:2], 3, v[0:1]
	v_mov_b32_e32 v3, s19
	v_add_co_u32_e32 v1, vcc, s18, v1
	v_addc_co_u32_e32 v2, vcc, v3, v2, vcc
	buffer_store_dword v1, off, s[56:59], 0 offset:296 ; 4-byte Folded Spill
	s_nop 0
	buffer_store_dword v2, off, s[56:59], 0 offset:300 ; 4-byte Folded Spill
	v_add_u32_e32 v0, s10, v0
	v_ashrrev_i32_e32 v1, 31, v0
	v_lshlrev_b64 v[1:2], 3, v[0:1]
	v_add_u32_e32 v0, s10, v0
	v_add_co_u32_e32 v1, vcc, s18, v1
	v_addc_co_u32_e32 v2, vcc, v3, v2, vcc
	buffer_store_dword v1, off, s[56:59], 0 offset:312 ; 4-byte Folded Spill
	s_nop 0
	buffer_store_dword v2, off, s[56:59], 0 offset:316 ; 4-byte Folded Spill
	v_ashrrev_i32_e32 v1, 31, v0
	v_lshlrev_b64 v[1:2], 3, v[0:1]
	v_add_u32_e32 v0, s10, v0
	v_add_co_u32_e32 v1, vcc, s18, v1
	v_addc_co_u32_e32 v2, vcc, v3, v2, vcc
	buffer_store_dword v1, off, s[56:59], 0 offset:360 ; 4-byte Folded Spill
	s_nop 0
	buffer_store_dword v2, off, s[56:59], 0 offset:364 ; 4-byte Folded Spill
	;; [unrolled: 8-line block ×5, first 2 shown]
	v_ashrrev_i32_e32 v1, 31, v0
	v_lshlrev_b64 v[1:2], 3, v[0:1]
	v_add_u32_e32 v0, s10, v0
	v_add_co_u32_e32 v52, vcc, s18, v1
	v_ashrrev_i32_e32 v1, 31, v0
	v_addc_co_u32_e32 v53, vcc, v3, v2, vcc
	v_lshlrev_b64 v[1:2], 3, v[0:1]
	v_add_u32_e32 v0, s10, v0
	v_add_co_u32_e32 v50, vcc, s18, v1
	v_ashrrev_i32_e32 v1, 31, v0
	v_addc_co_u32_e32 v51, vcc, v3, v2, vcc
	;; [unrolled: 5-line block ×12, first 2 shown]
	v_lshlrev_b64 v[2:3], 3, v[0:1]
	v_add_u32_e32 v0, s10, v0
	v_ashrrev_i32_e32 v1, 31, v0
	v_mov_b32_e32 v4, s19
	v_add_co_u32_e32 v32, vcc, s18, v2
	v_lshlrev_b64 v[1:2], 3, v[0:1]
	v_addc_co_u32_e32 v33, vcc, v4, v3, vcc
	v_add_u32_e32 v0, s10, v0
	v_mov_b32_e32 v3, s19
	v_add_co_u32_e32 v30, vcc, s18, v1
	v_ashrrev_i32_e32 v1, 31, v0
	v_addc_co_u32_e32 v31, vcc, v3, v2, vcc
	v_lshlrev_b64 v[1:2], 3, v[0:1]
	v_add_u32_e32 v0, s10, v0
	v_add_co_u32_e32 v28, vcc, s18, v1
	v_ashrrev_i32_e32 v1, 31, v0
	v_addc_co_u32_e32 v29, vcc, v3, v2, vcc
	v_lshlrev_b64 v[1:2], 3, v[0:1]
	v_add_u32_e32 v0, s10, v0
	;; [unrolled: 5-line block ×13, first 2 shown]
	v_add_co_u32_e32 v4, vcc, s18, v1
	v_ashrrev_i32_e32 v1, 31, v0
	v_lshlrev_b64 v[0:1], 3, v[0:1]
	v_addc_co_u32_e32 v5, vcc, v3, v2, vcc
	v_add_co_u32_e32 v2, vcc, s18, v0
	v_addc_co_u32_e32 v3, vcc, v3, v1, vcc
	buffer_load_dword v0, off, s[56:59], 0  ; 4-byte Folded Reload
	buffer_load_dword v1, off, s[56:59], 0 offset:4 ; 4-byte Folded Reload
	buffer_load_dword v62, off, s[56:59], 0 offset:16 ; 4-byte Folded Reload
	;; [unrolled: 1-line block ×3, first 2 shown]
	s_waitcnt vmcnt(0)
	v_div_fixup_f64 v[0:1], v[62:63], v[60:61], v[0:1]
	buffer_store_dword v0, off, s[56:59], 0 offset:696 ; 4-byte Folded Spill
	s_nop 0
	buffer_store_dword v1, off, s[56:59], 0 offset:700 ; 4-byte Folded Spill
	buffer_load_dword v0, off, s[56:59], 0 offset:56 ; 4-byte Folded Reload
	s_nop 0
	buffer_load_dword v1, off, s[56:59], 0 offset:60 ; 4-byte Folded Reload
	s_waitcnt vmcnt(0)
	v_div_fixup_f64 v[44:45], v[0:1], v[60:61], -1.0
	buffer_load_dword v0, off, s[56:59], 0 offset:64 ; 4-byte Folded Reload
	buffer_load_dword v1, off, s[56:59], 0 offset:68 ; 4-byte Folded Reload
	;; [unrolled: 1-line block ×3, first 2 shown]
	s_waitcnt vmcnt(2)
	v_add_co_u32_e32 v60, vcc, s0, v0
	s_waitcnt vmcnt(0)
	v_addc_co_u32_e32 v61, vcc, v1, v61, vcc
	global_load_dwordx2 v[0:1], v[0:1], off
	s_waitcnt vmcnt(0)
	buffer_store_dword v0, off, s[56:59], 0 offset:464 ; 4-byte Folded Spill
	s_nop 0
	buffer_store_dword v1, off, s[56:59], 0 offset:468 ; 4-byte Folded Spill
	global_load_dwordx2 v[60:61], v[60:61], off
	s_waitcnt vmcnt(0)
	buffer_store_dword v60, off, s[56:59], 0 offset:456 ; 4-byte Folded Spill
	s_nop 0
	buffer_store_dword v61, off, s[56:59], 0 offset:460 ; 4-byte Folded Spill
	buffer_load_dword v0, off, s[56:59], 0 offset:32 ; 4-byte Folded Reload
	buffer_load_dword v1, off, s[56:59], 0 offset:36 ; 4-byte Folded Reload
	s_mov_b32 s0, 0xe2308c3a
	s_mov_b32 s1, 0x3e45798e
	v_cmp_ngt_f64_e64 s[0:1], |v[44:45]|, s[0:1]
	s_waitcnt vmcnt(0)
	global_load_dwordx2 v[60:61], v[0:1], off
	s_waitcnt vmcnt(0)
	buffer_store_dword v60, off, s[56:59], 0 offset:448 ; 4-byte Folded Spill
	s_nop 0
	buffer_store_dword v61, off, s[56:59], 0 offset:452 ; 4-byte Folded Spill
	buffer_load_dword v0, off, s[56:59], 0 offset:48 ; 4-byte Folded Reload
	buffer_load_dword v1, off, s[56:59], 0 offset:52 ; 4-byte Folded Reload
	s_waitcnt vmcnt(0)
	global_load_dwordx2 v[60:61], v[0:1], off
	s_waitcnt vmcnt(0)
	buffer_store_dword v60, off, s[56:59], 0 offset:240 ; 4-byte Folded Spill
	s_nop 0
	buffer_store_dword v61, off, s[56:59], 0 offset:244 ; 4-byte Folded Spill
	buffer_load_dword v0, off, s[56:59], 0 offset:72 ; 4-byte Folded Reload
	buffer_load_dword v1, off, s[56:59], 0 offset:76 ; 4-byte Folded Reload
	s_waitcnt vmcnt(0)
	global_load_dwordx2 v[0:1], v[0:1], off
	s_waitcnt vmcnt(0)
	buffer_store_dword v0, off, s[56:59], 0 offset:472 ; 4-byte Folded Spill
	s_nop 0
	buffer_store_dword v1, off, s[56:59], 0 offset:476 ; 4-byte Folded Spill
	buffer_load_dword v0, off, s[56:59], 0 offset:80 ; 4-byte Folded Reload
	s_nop 0
	buffer_load_dword v1, off, s[56:59], 0 offset:84 ; 4-byte Folded Reload
	s_waitcnt vmcnt(0)
	global_load_dwordx2 v[60:61], v[0:1], off
	s_waitcnt vmcnt(0)
	buffer_store_dword v60, off, s[56:59], 0 offset:104 ; 4-byte Folded Spill
	s_nop 0
	buffer_store_dword v61, off, s[56:59], 0 offset:108 ; 4-byte Folded Spill
	buffer_load_dword v0, off, s[56:59], 0 offset:88 ; 4-byte Folded Reload
	buffer_load_dword v1, off, s[56:59], 0 offset:92 ; 4-byte Folded Reload
	s_waitcnt vmcnt(0)
	global_load_dwordx2 v[60:61], v[0:1], off
	s_waitcnt vmcnt(0)
	buffer_store_dword v60, off, s[56:59], 0 offset:288 ; 4-byte Folded Spill
	s_nop 0
	buffer_store_dword v61, off, s[56:59], 0 offset:292 ; 4-byte Folded Spill
	buffer_load_dword v0, off, s[56:59], 0 offset:112 ; 4-byte Folded Reload
	;; [unrolled: 8-line block ×5, first 2 shown]
	s_nop 0
	buffer_load_dword v1, off, s[56:59], 0 offset:140 ; 4-byte Folded Reload
	s_waitcnt vmcnt(0)
	global_load_dwordx2 v[0:1], v[0:1], off
	s_waitcnt vmcnt(0)
	buffer_store_dword v0, off, s[56:59], 0 offset:488 ; 4-byte Folded Spill
	s_nop 0
	buffer_store_dword v1, off, s[56:59], 0 offset:492 ; 4-byte Folded Spill
	buffer_load_dword v0, off, s[56:59], 0 offset:152 ; 4-byte Folded Reload
	s_nop 0
	buffer_load_dword v1, off, s[56:59], 0 offset:156 ; 4-byte Folded Reload
	s_waitcnt vmcnt(0)
	global_load_dwordx2 v[0:1], v[0:1], off
	s_waitcnt vmcnt(0)
	buffer_store_dword v0, off, s[56:59], 0 offset:496 ; 4-byte Folded Spill
	s_nop 0
	buffer_store_dword v1, off, s[56:59], 0 offset:500 ; 4-byte Folded Spill
	buffer_load_dword v0, off, s[56:59], 0 offset:192 ; 4-byte Folded Reload
	;; [unrolled: 9-line block ×3, first 2 shown]
	buffer_load_dword v1, off, s[56:59], 0 offset:164 ; 4-byte Folded Reload
	s_waitcnt vmcnt(0)
	global_load_dwordx2 v[60:61], v[0:1], off
	s_waitcnt vmcnt(0)
	buffer_store_dword v60, off, s[56:59], 0 offset:256 ; 4-byte Folded Spill
	s_nop 0
	buffer_store_dword v61, off, s[56:59], 0 offset:260 ; 4-byte Folded Spill
	buffer_load_dword v0, off, s[56:59], 0 offset:200 ; 4-byte Folded Reload
	buffer_load_dword v1, off, s[56:59], 0 offset:204 ; 4-byte Folded Reload
	s_waitcnt vmcnt(0)
	global_load_dwordx2 v[0:1], v[0:1], off
	s_waitcnt vmcnt(0)
	buffer_store_dword v0, off, s[56:59], 0 offset:608 ; 4-byte Folded Spill
	s_nop 0
	buffer_store_dword v1, off, s[56:59], 0 offset:612 ; 4-byte Folded Spill
	buffer_load_dword v0, off, s[56:59], 0 offset:176 ; 4-byte Folded Reload
	s_nop 0
	buffer_load_dword v1, off, s[56:59], 0 offset:180 ; 4-byte Folded Reload
	s_waitcnt vmcnt(0)
	global_load_dwordx2 v[0:1], v[0:1], off
	s_waitcnt vmcnt(0)
	buffer_store_dword v0, off, s[56:59], 0 offset:368 ; 4-byte Folded Spill
	s_nop 0
	buffer_store_dword v1, off, s[56:59], 0 offset:372 ; 4-byte Folded Spill
	buffer_load_dword v0, off, s[56:59], 0 offset:208 ; 4-byte Folded Reload
	s_nop 0
	buffer_load_dword v1, off, s[56:59], 0 offset:212 ; 4-byte Folded Reload
	s_waitcnt vmcnt(0)
	global_load_dwordx2 v[60:61], v[0:1], off
	s_waitcnt vmcnt(0)
	buffer_store_dword v60, off, s[56:59], 0 offset:128 ; 4-byte Folded Spill
	s_nop 0
	buffer_store_dword v61, off, s[56:59], 0 offset:132 ; 4-byte Folded Spill
	buffer_load_dword v0, off, s[56:59], 0 offset:216 ; 4-byte Folded Reload
	buffer_load_dword v1, off, s[56:59], 0 offset:220 ; 4-byte Folded Reload
	s_waitcnt vmcnt(0)
	global_load_dwordx2 v[60:61], v[0:1], off
	s_waitcnt vmcnt(0)
	buffer_store_dword v60, off, s[56:59], 0 offset:264 ; 4-byte Folded Spill
	s_nop 0
	buffer_store_dword v61, off, s[56:59], 0 offset:268 ; 4-byte Folded Spill
	buffer_load_dword v0, off, s[56:59], 0 offset:232 ; 4-byte Folded Reload
	;; [unrolled: 8-line block ×3, first 2 shown]
	s_nop 0
	buffer_load_dword v1, off, s[56:59], 0 offset:300 ; 4-byte Folded Reload
	s_waitcnt vmcnt(0)
	global_load_dwordx2 v[0:1], v[0:1], off
	s_waitcnt vmcnt(0)
	buffer_store_dword v0, off, s[56:59], 0 offset:384 ; 4-byte Folded Spill
	s_nop 0
	buffer_store_dword v1, off, s[56:59], 0 offset:388 ; 4-byte Folded Spill
	buffer_load_dword v0, off, s[56:59], 0 offset:312 ; 4-byte Folded Reload
	s_nop 0
	buffer_load_dword v1, off, s[56:59], 0 offset:316 ; 4-byte Folded Reload
	s_waitcnt vmcnt(0)
	global_load_dwordx2 v[60:61], v[0:1], off
	s_waitcnt vmcnt(0)
	buffer_store_dword v60, off, s[56:59], 0 offset:232 ; 4-byte Folded Spill
	s_nop 0
	buffer_store_dword v61, off, s[56:59], 0 offset:236 ; 4-byte Folded Spill
	buffer_load_dword v0, off, s[56:59], 0 offset:360 ; 4-byte Folded Reload
	buffer_load_dword v1, off, s[56:59], 0 offset:364 ; 4-byte Folded Reload
	s_waitcnt vmcnt(0)
	global_load_dwordx2 v[0:1], v[0:1], off
	s_waitcnt vmcnt(0)
	buffer_store_dword v0, off, s[56:59], 0 offset:360 ; 4-byte Folded Spill
	s_nop 0
	buffer_store_dword v1, off, s[56:59], 0 offset:364 ; 4-byte Folded Spill
	buffer_load_dword v0, off, s[56:59], 0 offset:416 ; 4-byte Folded Reload
	s_nop 0
	buffer_load_dword v1, off, s[56:59], 0 offset:420 ; 4-byte Folded Reload
	s_waitcnt vmcnt(0)
	global_load_dwordx2 v[0:1], v[0:1], off
	s_waitcnt vmcnt(0)
	buffer_store_dword v0, off, s[56:59], 0 offset:528 ; 4-byte Folded Spill
	s_nop 0
	buffer_store_dword v1, off, s[56:59], 0 offset:532 ; 4-byte Folded Spill
	buffer_load_dword v0, off, s[56:59], 0 offset:424 ; 4-byte Folded Reload
	s_nop 0
	;; [unrolled: 9-line block ×4, first 2 shown]
	buffer_load_dword v61, off, s[56:59], 0 offset:644 ; 4-byte Folded Reload
	global_load_dwordx2 v[0:1], v[52:53], off
	s_waitcnt vmcnt(0)
	buffer_store_dword v0, off, s[56:59], 0 offset:576 ; 4-byte Folded Spill
	s_nop 0
	buffer_store_dword v1, off, s[56:59], 0 offset:580 ; 4-byte Folded Spill
	global_load_dwordx2 v[62:63], v[50:51], off
	s_nop 0
	global_load_dwordx2 v[0:1], v[54:55], off
	s_nop 0
	buffer_load_dword v54, off, s[56:59], 0 offset:632 ; 4-byte Folded Reload
	buffer_load_dword v55, off, s[56:59], 0 offset:636 ; 4-byte Folded Reload
	s_waitcnt vmcnt(2)
	buffer_store_dword v0, off, s[56:59], 0 offset:536 ; 4-byte Folded Spill
	s_nop 0
	buffer_store_dword v1, off, s[56:59], 0 offset:540 ; 4-byte Folded Spill
	global_load_dwordx2 v[0:1], v[58:59], off
	s_nop 0
	buffer_load_dword v58, off, s[56:59], 0 offset:656 ; 4-byte Folded Reload
	buffer_load_dword v59, off, s[56:59], 0 offset:660 ; 4-byte Folded Reload
	s_waitcnt vmcnt(2)
	buffer_store_dword v0, off, s[56:59], 0 offset:512 ; 4-byte Folded Spill
	s_nop 0
	buffer_store_dword v1, off, s[56:59], 0 offset:516 ; 4-byte Folded Spill
	global_load_dwordx2 v[0:1], v[56:57], off
	s_waitcnt vmcnt(0)
	buffer_store_dword v0, off, s[56:59], 0 offset:648 ; 4-byte Folded Spill
	s_nop 0
	buffer_store_dword v1, off, s[56:59], 0 offset:652 ; 4-byte Folded Spill
	global_load_dwordx2 v[0:1], v[48:49], off
	s_waitcnt vmcnt(0)
	buffer_store_dword v0, off, s[56:59], 0 offset:216 ; 4-byte Folded Spill
	s_nop 0
	buffer_store_dword v1, off, s[56:59], 0 offset:220 ; 4-byte Folded Spill
	global_load_dwordx2 v[0:1], v[46:47], off
	s_nop 0
	buffer_load_dword v52, off, s[56:59], 0 offset:664 ; 4-byte Folded Reload
	buffer_load_dword v53, off, s[56:59], 0 offset:668 ; 4-byte Folded Reload
	s_waitcnt vmcnt(2)
	buffer_store_dword v0, off, s[56:59], 0 offset:520 ; 4-byte Folded Spill
	s_nop 0
	buffer_store_dword v1, off, s[56:59], 0 offset:524 ; 4-byte Folded Spill
	global_load_dwordx2 v[0:1], v[42:43], off
	s_nop 0
	buffer_load_dword v42, off, s[56:59], 0 offset:672 ; 4-byte Folded Reload
	buffer_load_dword v43, off, s[56:59], 0 offset:676 ; 4-byte Folded Reload
	s_waitcnt vmcnt(2)
	buffer_store_dword v0, off, s[56:59], 0 offset:312 ; 4-byte Folded Spill
	s_nop 0
	buffer_store_dword v1, off, s[56:59], 0 offset:316 ; 4-byte Folded Spill
	global_load_dwordx2 v[0:1], v[40:41], off
	s_waitcnt vmcnt(0)
	buffer_store_dword v0, off, s[56:59], 0 offset:600 ; 4-byte Folded Spill
	s_nop 0
	buffer_store_dword v1, off, s[56:59], 0 offset:604 ; 4-byte Folded Spill
	global_load_dwordx2 v[0:1], v[38:39], off
	;; [unrolled: 5-line block ×3, first 2 shown]
	s_nop 0
	buffer_load_dword v36, off, s[56:59], 0 offset:680 ; 4-byte Folded Reload
	buffer_load_dword v37, off, s[56:59], 0 offset:684 ; 4-byte Folded Reload
	global_load_dwordx2 v[0:1], v[34:35], off
	s_nop 0
	buffer_load_dword v34, off, s[56:59], 0 offset:688 ; 4-byte Folded Reload
	buffer_load_dword v35, off, s[56:59], 0 offset:692 ; 4-byte Folded Reload
	s_waitcnt vmcnt(2)
	buffer_store_dword v0, off, s[56:59], 0 offset:592 ; 4-byte Folded Spill
	s_nop 0
	buffer_store_dword v1, off, s[56:59], 0 offset:596 ; 4-byte Folded Spill
	global_load_dwordx2 v[0:1], v[32:33], off
	s_waitcnt vmcnt(0)
	buffer_store_dword v0, off, s[56:59], 0 offset:560 ; 4-byte Folded Spill
	s_nop 0
	buffer_store_dword v1, off, s[56:59], 0 offset:564 ; 4-byte Folded Spill
	global_load_dwordx2 v[0:1], v[30:31], off
	;; [unrolled: 5-line block ×6, first 2 shown]
	s_nop 0
	buffer_load_dword v22, off, s[56:59], 0 offset:624 ; 4-byte Folded Reload
	buffer_load_dword v23, off, s[56:59], 0 offset:628 ; 4-byte Folded Reload
	s_waitcnt vmcnt(2)
	buffer_store_dword v0, off, s[56:59], 0 offset:176 ; 4-byte Folded Spill
	s_nop 0
	buffer_store_dword v1, off, s[56:59], 0 offset:180 ; 4-byte Folded Spill
	global_load_dwordx2 v[20:21], v[20:21], off
	s_waitcnt vmcnt(0)
	buffer_store_dword v20, off, s[56:59], 0 offset:32 ; 4-byte Folded Spill
	s_nop 0
	buffer_store_dword v21, off, s[56:59], 0 offset:36 ; 4-byte Folded Spill
	global_load_dwordx2 v[18:19], v[18:19], off
	;; [unrolled: 5-line block ×5, first 2 shown]
	s_nop 0
	global_load_dwordx2 v[10:11], v[10:11], off
	s_waitcnt vmcnt(0)
	buffer_store_dword v10, off, s[56:59], 0 offset:416 ; 4-byte Folded Spill
	s_nop 0
	buffer_store_dword v11, off, s[56:59], 0 offset:420 ; 4-byte Folded Spill
	global_load_dwordx2 v[8:9], v[8:9], off
	s_waitcnt vmcnt(0)
	buffer_store_dword v8, off, s[56:59], 0 offset:424 ; 4-byte Folded Spill
	s_nop 0
	buffer_store_dword v9, off, s[56:59], 0 offset:428 ; 4-byte Folded Spill
	;; [unrolled: 5-line block ×11, first 2 shown]
	global_load_dwordx2 v[2:3], v[36:37], off
	s_waitcnt vmcnt(0)
	buffer_store_dword v2, off, s[56:59], 0 ; 4-byte Folded Spill
	s_nop 0
	buffer_store_dword v3, off, s[56:59], 0 offset:4 ; 4-byte Folded Spill
	global_load_dwordx2 v[26:27], v[34:35], off
	buffer_load_dword v0, off, s[56:59], 0 offset:336 ; 4-byte Folded Reload
	buffer_load_dword v1, off, s[56:59], 0 offset:340 ; 4-byte Folded Reload
	s_waitcnt vmcnt(0)
	global_load_dwordx2 v[2:3], v[0:1], off
	s_waitcnt vmcnt(0)
	buffer_store_dword v2, off, s[56:59], 0 offset:136 ; 4-byte Folded Spill
	s_nop 0
	buffer_store_dword v3, off, s[56:59], 0 offset:140 ; 4-byte Folded Spill
	buffer_load_dword v0, off, s[56:59], 0 offset:328 ; 4-byte Folded Reload
	buffer_load_dword v1, off, s[56:59], 0 offset:332 ; 4-byte Folded Reload
                                        ; implicit-def: $vgpr2_vgpr3
	s_waitcnt vmcnt(0)
	global_load_dwordx2 v[0:1], v[0:1], off
	s_waitcnt vmcnt(0)
	buffer_store_dword v0, off, s[56:59], 0 offset:208 ; 4-byte Folded Spill
	s_nop 0
	buffer_store_dword v1, off, s[56:59], 0 offset:212 ; 4-byte Folded Spill
	buffer_load_dword v0, off, s[56:59], 0 offset:320 ; 4-byte Folded Reload
	s_nop 0
	buffer_load_dword v1, off, s[56:59], 0 offset:324 ; 4-byte Folded Reload
	s_waitcnt vmcnt(0)
	global_load_dwordx2 v[32:33], v[0:1], off
	s_nop 0
	buffer_load_dword v0, off, s[56:59], 0 offset:304 ; 4-byte Folded Reload
	buffer_load_dword v1, off, s[56:59], 0 offset:308 ; 4-byte Folded Reload
	s_waitcnt vmcnt(0)
	global_load_dwordx2 v[28:29], v[0:1], off
	s_and_saveexec_b64 s[2:3], s[0:1]
	s_xor_b64 s[0:1], exec, s[2:3]
	s_cbranch_execz .LBB0_3
; %bb.2:
	buffer_load_dword v0, off, s[56:59], 0 offset:696 ; 4-byte Folded Reload
	buffer_load_dword v1, off, s[56:59], 0 offset:700 ; 4-byte Folded Reload
                                        ; implicit-def: $vgpr44_vgpr45
	s_waitcnt vmcnt(0)
	v_mul_f64 v[2:3], s[16:17], v[0:1]
                                        ; implicit-def: $vgpr0_vgpr1
                                        ; kill: killed $vgpr0_vgpr1
.LBB0_3:
	s_andn2_saveexec_b64 s[2:3], s[0:1]
	s_cbranch_execz .LBB0_5
; %bb.4:
	v_mul_f64 v[2:3], s[16:17], v[44:45]
	s_mov_b32 s0, 0x652b82fe
	s_mov_b32 s1, 0x3ff71547
	v_mov_b32_e32 v8, 0xfca7ab0c
	v_mov_b32_e32 v9, 0x3e928af3
	buffer_load_dword v0, off, s[56:59], 0 offset:696 ; 4-byte Folded Reload
	buffer_load_dword v1, off, s[56:59], 0 offset:700 ; 4-byte Folded Reload
	s_mov_b32 s4, 0
	s_mov_b32 s5, 0xc090cc00
	v_mul_f64 v[4:5], v[2:3], s[0:1]
	s_mov_b32 s0, 0xfefa39ef
	s_mov_b32 s1, 0xbfe62e42
	v_rndne_f64_e32 v[4:5], v[4:5]
	v_fma_f64 v[6:7], v[4:5], s[0:1], v[2:3]
	s_mov_b32 s0, 0x3b39803f
	s_mov_b32 s1, 0xbc7abc9e
	v_fma_f64 v[6:7], v[4:5], s[0:1], v[6:7]
	s_mov_b32 s0, 0x6a5dcb37
	s_mov_b32 s1, 0x3e5ade15
	v_cvt_i32_f64_e32 v4, v[4:5]
	v_fma_f64 v[8:9], v[6:7], s[0:1], v[8:9]
	s_mov_b32 s0, 0x623fde64
	s_mov_b32 s1, 0x3ec71dee
	v_fma_f64 v[8:9], v[6:7], v[8:9], s[0:1]
	s_mov_b32 s0, 0x7c89e6b0
	s_mov_b32 s1, 0x3efa0199
	;; [unrolled: 3-line block ×9, first 2 shown]
	v_cmp_nlt_f64_e32 vcc, s[0:1], v[2:3]
	v_cmp_ngt_f64_e64 s[0:1], s[4:5], v[2:3]
	v_fma_f64 v[8:9], v[6:7], v[8:9], 1.0
	v_fma_f64 v[6:7], v[6:7], v[8:9], 1.0
	v_ldexp_f64 v[4:5], v[6:7], v4
	v_mov_b32_e32 v6, 0x7ff00000
	v_mov_b32_e32 v7, 0xbff00000
	v_add_f64 v[4:5], v[4:5], -1.0
	v_cndmask_b32_e32 v5, v6, v5, vcc
	s_and_b64 vcc, s[0:1], vcc
	v_cndmask_b32_e64 v3, v7, v5, s[0:1]
	v_cndmask_b32_e32 v2, 0, v4, vcc
	s_waitcnt vmcnt(0)
	v_mul_f64 v[2:3], v[0:1], v[2:3]
	v_div_scale_f64 v[4:5], s[0:1], v[44:45], v[44:45], v[2:3]
	v_div_scale_f64 v[10:11], vcc, v[2:3], v[44:45], v[2:3]
	v_rcp_f64_e32 v[6:7], v[4:5]
	v_fma_f64 v[8:9], -v[4:5], v[6:7], 1.0
	v_fma_f64 v[6:7], v[6:7], v[8:9], v[6:7]
	v_fma_f64 v[8:9], -v[4:5], v[6:7], 1.0
	v_fma_f64 v[6:7], v[6:7], v[8:9], v[6:7]
	v_mul_f64 v[8:9], v[10:11], v[6:7]
	v_fma_f64 v[4:5], -v[4:5], v[8:9], v[10:11]
	v_div_fmas_f64 v[4:5], v[4:5], v[6:7], v[8:9]
	v_div_fixup_f64 v[2:3], v[4:5], v[44:45], v[2:3]
.LBB0_5:
	s_or_b64 exec, exec, s[2:3]
	buffer_load_dword v0, off, s[56:59], 0 offset:248 ; 4-byte Folded Reload
	buffer_load_dword v1, off, s[56:59], 0 offset:252 ; 4-byte Folded Reload
	s_mov_b32 s0, 0
	s_mov_b32 s1, 0x40380000
	;; [unrolled: 1-line block ×14, first 2 shown]
	s_waitcnt vmcnt(0)
	v_add_f64 v[0:1], v[0:1], v[2:3]
	buffer_load_dword v2, off, s[56:59], 0 offset:616 ; 4-byte Folded Reload
	buffer_load_dword v3, off, s[56:59], 0 offset:620 ; 4-byte Folded Reload
	s_waitcnt vmcnt(0)
	global_store_dwordx2 v[2:3], v[0:1], off
	buffer_load_dword v30, off, s[56:59], 0 offset:24 ; 4-byte Folded Reload
	buffer_load_dword v31, off, s[56:59], 0 offset:28 ; 4-byte Folded Reload
	s_waitcnt vmcnt(0)
	v_div_scale_f64 v[0:1], s[2:3], s[0:1], s[0:1], v[30:31]
	s_mov_b32 s2, 0
	s_mov_b32 s3, 0x40900000
	v_rcp_f64_e32 v[2:3], v[0:1]
	v_fma_f64 v[4:5], -v[0:1], v[2:3], 1.0
	v_fma_f64 v[2:3], v[2:3], v[4:5], v[2:3]
	v_fma_f64 v[4:5], -v[0:1], v[2:3], 1.0
	v_fma_f64 v[2:3], v[2:3], v[4:5], v[2:3]
	v_div_scale_f64 v[4:5], vcc, v[30:31], s[0:1], v[30:31]
	v_mul_f64 v[6:7], v[4:5], v[2:3]
	v_fma_f64 v[0:1], -v[0:1], v[6:7], v[4:5]
	s_nop 1
	v_div_fmas_f64 v[0:1], v[0:1], v[2:3], v[6:7]
	v_div_fixup_f64 v[0:1], v[0:1], s[0:1], v[30:31]
	s_mov_b32 s0, 0x55555555
	s_mov_b32 s1, 0x400d5555
	v_add_f64 v[0:1], v[0:1], s[0:1]
	s_mov_b32 s0, 0xfca7ab0c
	s_mov_b32 s1, 0x3e928af3
	v_mov_b32_e32 v15, s1
	v_mov_b32_e32 v14, s0
	v_mul_f64 v[2:3], v[0:1], s[8:9]
	v_rndne_f64_e32 v[2:3], v[2:3]
	v_fma_f64 v[4:5], v[2:3], s[6:7], v[0:1]
	v_fma_f64 v[4:5], v[2:3], s[10:11], v[4:5]
	v_cvt_i32_f64_e32 v2, v[2:3]
	v_fma_f64 v[6:7], v[4:5], s[12:13], v[14:15]
	v_fma_f64 v[6:7], v[4:5], v[6:7], s[18:19]
	;; [unrolled: 1-line block ×9, first 2 shown]
	v_fma_f64 v[6:7], v[4:5], v[6:7], 1.0
	v_fma_f64 v[4:5], v[4:5], v[6:7], 1.0
	v_ldexp_f64 v[2:3], v[4:5], v2
	v_add_f64 v[2:3], v[2:3], 1.0
	v_div_scale_f64 v[4:5], s[0:1], v[2:3], v[2:3], 1.0
	v_cmp_ngt_f64_e64 s[0:1], s[4:5], v[0:1]
	v_rcp_f64_e32 v[6:7], v[4:5]
	v_fma_f64 v[8:9], -v[4:5], v[6:7], 1.0
	v_fma_f64 v[6:7], v[6:7], v[8:9], v[6:7]
	v_fma_f64 v[8:9], -v[4:5], v[6:7], 1.0
	v_fma_f64 v[6:7], v[6:7], v[8:9], v[6:7]
	v_div_scale_f64 v[8:9], vcc, 1.0, v[2:3], 1.0
	v_mul_f64 v[10:11], v[8:9], v[6:7]
	v_fma_f64 v[4:5], -v[4:5], v[10:11], v[8:9]
	s_nop 1
	v_div_fmas_f64 v[4:5], v[4:5], v[6:7], v[10:11]
	v_cmp_nlt_f64_e32 vcc, s[2:3], v[0:1]
	v_mov_b32_e32 v0, 0x3ff00000
	v_div_fixup_f64 v[2:3], v[4:5], v[2:3], 1.0
	v_cndmask_b32_e32 v3, 0, v3, vcc
	s_and_b64 vcc, s[0:1], vcc
	v_cndmask_b32_e64 v13, v0, v3, s[0:1]
	s_mov_b32 s0, 0
	s_mov_b32 s1, 0x40340000
	v_div_scale_f64 v[0:1], s[36:37], s[0:1], s[0:1], v[30:31]
	v_cndmask_b32_e32 v12, 0, v2, vcc
	s_mov_b32 s36, 0
	s_mov_b32 s37, 0xc0080000
	v_rcp_f64_e32 v[2:3], v[0:1]
	v_fma_f64 v[4:5], -v[0:1], v[2:3], 1.0
	v_fma_f64 v[2:3], v[2:3], v[4:5], v[2:3]
	v_fma_f64 v[4:5], -v[0:1], v[2:3], 1.0
	v_fma_f64 v[2:3], v[2:3], v[4:5], v[2:3]
	v_div_scale_f64 v[4:5], vcc, v[30:31], s[0:1], v[30:31]
	v_mul_f64 v[6:7], v[4:5], v[2:3]
	v_fma_f64 v[0:1], -v[0:1], v[6:7], v[4:5]
	s_nop 1
	v_div_fmas_f64 v[0:1], v[0:1], v[2:3], v[6:7]
	v_div_fixup_f64 v[38:39], v[0:1], s[0:1], v[30:31]
	s_mov_b32 s0, 0
	s_mov_b32 s1, 0x40080000
	v_add_f64 v[0:1], -v[38:39], s[36:37]
	v_mul_f64 v[2:3], v[0:1], s[8:9]
	v_rndne_f64_e32 v[2:3], v[2:3]
	v_fma_f64 v[4:5], v[2:3], s[6:7], v[0:1]
	v_fma_f64 v[4:5], v[2:3], s[10:11], v[4:5]
	v_cvt_i32_f64_e32 v2, v[2:3]
	v_fma_f64 v[6:7], v[4:5], s[12:13], v[14:15]
	v_fma_f64 v[6:7], v[4:5], v[6:7], s[18:19]
	;; [unrolled: 1-line block ×9, first 2 shown]
	v_fma_f64 v[6:7], v[4:5], v[6:7], 1.0
	v_fma_f64 v[4:5], v[4:5], v[6:7], 1.0
	v_ldexp_f64 v[2:3], v[4:5], v2
	v_add_f64 v[2:3], v[2:3], 1.0
	v_div_scale_f64 v[4:5], s[38:39], v[2:3], v[2:3], s[0:1]
	v_rcp_f64_e32 v[6:7], v[4:5]
	v_fma_f64 v[8:9], -v[4:5], v[6:7], 1.0
	v_fma_f64 v[6:7], v[6:7], v[8:9], v[6:7]
	v_fma_f64 v[8:9], -v[4:5], v[6:7], 1.0
	v_fma_f64 v[6:7], v[6:7], v[8:9], v[6:7]
	v_div_scale_f64 v[8:9], vcc, s[0:1], v[2:3], s[0:1]
	v_mul_f64 v[10:11], v[8:9], v[6:7]
	v_fma_f64 v[4:5], -v[4:5], v[10:11], v[8:9]
	s_nop 1
	v_div_fmas_f64 v[4:5], v[4:5], v[6:7], v[10:11]
	v_cmp_nlt_f64_e32 vcc, s[2:3], v[0:1]
	v_div_fixup_f64 v[2:3], v[4:5], v[2:3], s[0:1]
	v_cmp_ngt_f64_e64 s[0:1], s[4:5], v[0:1]
	v_mov_b32_e32 v0, 0x40080000
	v_cndmask_b32_e32 v3, 0, v3, vcc
	s_and_b64 vcc, s[0:1], vcc
	v_cndmask_b32_e32 v6, 0, v2, vcc
	v_cndmask_b32_e64 v7, v0, v3, s[0:1]
	v_add_f64 v[2:3], v[38:39], s[36:37]
	s_mov_b32 s0, 0x1eb851ec
	s_mov_b32 s1, 0x3ff1eb85
	v_mul_f64 v[0:1], v[2:3], s[8:9]
	v_rndne_f64_e32 v[0:1], v[0:1]
	v_fma_f64 v[4:5], v[0:1], s[6:7], v[2:3]
	v_fma_f64 v[4:5], v[0:1], s[10:11], v[4:5]
	v_cvt_i32_f64_e32 v0, v[0:1]
	v_fma_f64 v[8:9], v[4:5], s[12:13], v[14:15]
	v_fma_f64 v[8:9], v[4:5], v[8:9], s[18:19]
	;; [unrolled: 1-line block ×9, first 2 shown]
	v_fma_f64 v[8:9], v[4:5], v[8:9], 1.0
	v_fma_f64 v[4:5], v[4:5], v[8:9], 1.0
	v_ldexp_f64 v[0:1], v[4:5], v0
	v_add_f64 v[0:1], v[0:1], 1.0
	v_div_scale_f64 v[4:5], s[6:7], v[0:1], v[0:1], s[0:1]
	v_rcp_f64_e32 v[8:9], v[4:5]
	v_fma_f64 v[10:11], -v[4:5], v[8:9], 1.0
	v_fma_f64 v[8:9], v[8:9], v[10:11], v[8:9]
	v_fma_f64 v[10:11], -v[4:5], v[8:9], 1.0
	v_fma_f64 v[8:9], v[8:9], v[10:11], v[8:9]
	v_div_scale_f64 v[10:11], vcc, s[0:1], v[0:1], s[0:1]
	v_mul_f64 v[14:15], v[10:11], v[8:9]
	v_fma_f64 v[4:5], -v[4:5], v[14:15], v[10:11]
	s_nop 1
	v_div_fmas_f64 v[4:5], v[4:5], v[8:9], v[14:15]
	v_cmp_nlt_f64_e32 vcc, s[2:3], v[2:3]
	v_div_fixup_f64 v[0:1], v[4:5], v[0:1], s[0:1]
	v_cndmask_b32_e32 v0, 0, v0, vcc
	v_cndmask_b32_e32 v1, 0, v1, vcc
	v_cmp_ngt_f64_e32 vcc, s[4:5], v[2:3]
	v_mov_b32_e32 v2, 0x3ff1eb85
	v_cndmask_b32_e32 v1, v2, v1, vcc
	v_mov_b32_e32 v2, 0x1eb851ec
	v_cndmask_b32_e32 v0, v2, v0, vcc
	v_mul_f64 v[2:3], v[6:7], v[0:1]
	buffer_load_dword v0, off, s[56:59], 0 offset:8 ; 4-byte Folded Reload
	buffer_load_dword v1, off, s[56:59], 0 offset:12 ; 4-byte Folded Reload
	s_waitcnt vmcnt(0)
	v_add_f64 v[0:1], v[12:13], -v[0:1]
	v_div_scale_f64 v[4:5], s[0:1], v[2:3], v[2:3], v[0:1]
	v_rcp_f64_e32 v[6:7], v[4:5]
	v_fma_f64 v[8:9], -v[4:5], v[6:7], 1.0
	v_fma_f64 v[6:7], v[6:7], v[8:9], v[6:7]
	v_fma_f64 v[8:9], -v[4:5], v[6:7], 1.0
	v_fma_f64 v[6:7], v[6:7], v[8:9], v[6:7]
	v_div_scale_f64 v[8:9], vcc, v[0:1], v[2:3], v[0:1]
	v_mul_f64 v[10:11], v[8:9], v[6:7]
	v_fma_f64 v[4:5], -v[4:5], v[10:11], v[8:9]
	s_nop 1
	v_div_fmas_f64 v[4:5], v[4:5], v[6:7], v[10:11]
	v_div_fixup_f64 v[6:7], v[4:5], v[2:3], v[0:1]
	v_div_scale_f64 v[0:1], s[0:1], v[2:3], v[2:3], -1.0
	s_mov_b32 s0, 0xe2308c3a
	s_mov_b32 s1, 0x3e45798e
	v_rcp_f64_e32 v[4:5], v[0:1]
	v_fma_f64 v[8:9], -v[0:1], v[4:5], 1.0
	v_fma_f64 v[4:5], v[4:5], v[8:9], v[4:5]
	v_fma_f64 v[8:9], -v[0:1], v[4:5], 1.0
	v_fma_f64 v[4:5], v[4:5], v[8:9], v[4:5]
	v_div_scale_f64 v[8:9], vcc, -1.0, v[2:3], -1.0
	v_mul_f64 v[10:11], v[8:9], v[4:5]
	v_fma_f64 v[0:1], -v[0:1], v[10:11], v[8:9]
	s_nop 1
	v_div_fmas_f64 v[0:1], v[0:1], v[4:5], v[10:11]
                                        ; implicit-def: $vgpr4_vgpr5
	v_div_fixup_f64 v[2:3], v[0:1], v[2:3], -1.0
	v_cmp_ngt_f64_e64 s[0:1], |v[2:3]|, s[0:1]
	s_mov_b64 s[2:3], exec
	buffer_load_dword v48, off, s[56:59], 0 offset:144 ; 4-byte Folded Reload
	buffer_load_dword v49, off, s[56:59], 0 offset:148 ; 4-byte Folded Reload
	;; [unrolled: 1-line block ×4, first 2 shown]
	s_and_b64 s[4:5], s[2:3], s[0:1]
	s_xor_b64 s[0:1], s[4:5], s[2:3]
	s_mov_b64 exec, s[4:5]
; %bb.6:
	v_mul_f64 v[4:5], s[16:17], v[6:7]
                                        ; implicit-def: $vgpr2_vgpr3
                                        ; implicit-def: $vgpr6_vgpr7
; %bb.7:
	s_andn2_saveexec_b64 s[2:3], s[0:1]
	s_cbranch_execz .LBB0_9
; %bb.8:
	v_mul_f64 v[0:1], s[16:17], v[2:3]
	s_mov_b32 s0, 0x652b82fe
	s_mov_b32 s1, 0x3ff71547
	v_mov_b32_e32 v10, 0xfca7ab0c
	v_mov_b32_e32 v11, 0x3e928af3
	s_mov_b32 s4, 0
	s_mov_b32 s5, 0xc090cc00
	v_mul_f64 v[4:5], v[0:1], s[0:1]
	s_mov_b32 s0, 0xfefa39ef
	s_mov_b32 s1, 0xbfe62e42
	v_rndne_f64_e32 v[4:5], v[4:5]
	v_fma_f64 v[8:9], v[4:5], s[0:1], v[0:1]
	s_mov_b32 s0, 0x3b39803f
	s_mov_b32 s1, 0xbc7abc9e
	v_fma_f64 v[8:9], v[4:5], s[0:1], v[8:9]
	s_mov_b32 s0, 0x6a5dcb37
	s_mov_b32 s1, 0x3e5ade15
	v_cvt_i32_f64_e32 v4, v[4:5]
	v_fma_f64 v[10:11], v[8:9], s[0:1], v[10:11]
	s_mov_b32 s0, 0x623fde64
	s_mov_b32 s1, 0x3ec71dee
	v_fma_f64 v[10:11], v[8:9], v[10:11], s[0:1]
	s_mov_b32 s0, 0x7c89e6b0
	s_mov_b32 s1, 0x3efa0199
	;; [unrolled: 3-line block ×9, first 2 shown]
	v_cmp_nlt_f64_e32 vcc, s[0:1], v[0:1]
	v_cmp_ngt_f64_e64 s[0:1], s[4:5], v[0:1]
	v_fma_f64 v[10:11], v[8:9], v[10:11], 1.0
	v_fma_f64 v[8:9], v[8:9], v[10:11], 1.0
	v_ldexp_f64 v[4:5], v[8:9], v4
	v_mov_b32_e32 v8, 0x7ff00000
	v_mov_b32_e32 v9, 0xbff00000
	v_add_f64 v[4:5], v[4:5], -1.0
	v_cndmask_b32_e32 v5, v8, v5, vcc
	s_and_b64 vcc, s[0:1], vcc
	v_cndmask_b32_e64 v1, v9, v5, s[0:1]
	v_cndmask_b32_e32 v0, 0, v4, vcc
	v_mul_f64 v[0:1], v[6:7], v[0:1]
	v_div_scale_f64 v[4:5], s[0:1], v[2:3], v[2:3], v[0:1]
	v_div_scale_f64 v[10:11], vcc, v[0:1], v[2:3], v[0:1]
	v_rcp_f64_e32 v[6:7], v[4:5]
	v_fma_f64 v[8:9], -v[4:5], v[6:7], 1.0
	v_fma_f64 v[6:7], v[6:7], v[8:9], v[6:7]
	v_fma_f64 v[8:9], -v[4:5], v[6:7], 1.0
	v_fma_f64 v[6:7], v[6:7], v[8:9], v[6:7]
	v_mul_f64 v[8:9], v[10:11], v[6:7]
	v_fma_f64 v[4:5], -v[4:5], v[8:9], v[10:11]
	v_div_fmas_f64 v[4:5], v[4:5], v[6:7], v[8:9]
	v_div_fixup_f64 v[4:5], v[4:5], v[2:3], v[0:1]
.LBB0_9:
	s_or_b64 exec, exec, s[2:3]
	buffer_load_dword v0, off, s[56:59], 0 offset:8 ; 4-byte Folded Reload
	buffer_load_dword v1, off, s[56:59], 0 offset:12 ; 4-byte Folded Reload
	;; [unrolled: 1-line block ×4, first 2 shown]
	s_mov_b32 s0, 0
	s_mov_b32 s1, 0xc02c0000
	;; [unrolled: 1-line block ×24, first 2 shown]
	s_waitcnt vmcnt(2)
	v_add_f64 v[0:1], v[0:1], v[4:5]
	s_waitcnt vmcnt(0)
	global_store_dwordx2 v[2:3], v[0:1], off
	v_div_scale_f64 v[0:1], s[2:3], s[0:1], s[0:1], v[30:31]
	s_mov_b32 s2, 0x652b82fe
	s_mov_b32 s3, 0x3ff71547
	v_rcp_f64_e32 v[2:3], v[0:1]
	v_fma_f64 v[4:5], -v[0:1], v[2:3], 1.0
	v_fma_f64 v[2:3], v[2:3], v[4:5], v[2:3]
	v_fma_f64 v[4:5], -v[0:1], v[2:3], 1.0
	v_fma_f64 v[2:3], v[2:3], v[4:5], v[2:3]
	v_div_scale_f64 v[4:5], vcc, v[30:31], s[0:1], v[30:31]
	v_mul_f64 v[6:7], v[4:5], v[2:3]
	v_fma_f64 v[0:1], -v[0:1], v[6:7], v[4:5]
	s_nop 1
	v_div_fmas_f64 v[0:1], v[0:1], v[2:3], v[6:7]
	v_div_fixup_f64 v[0:1], v[0:1], s[0:1], v[30:31]
	s_mov_b32 s0, 0xb6db6db7
	s_mov_b32 s1, 0xbfd6db6d
	v_add_f64 v[0:1], v[0:1], s[0:1]
	s_mov_b32 s0, 0xfca7ab0c
	s_mov_b32 s1, 0x3e928af3
	v_mov_b32_e32 v15, s1
	v_mov_b32_e32 v14, s0
	v_mul_f64 v[2:3], v[0:1], s[2:3]
	v_rndne_f64_e32 v[2:3], v[2:3]
	v_fma_f64 v[4:5], v[2:3], s[4:5], v[0:1]
	v_fma_f64 v[4:5], v[2:3], s[6:7], v[4:5]
	v_cvt_i32_f64_e32 v2, v[2:3]
	v_fma_f64 v[6:7], v[4:5], s[8:9], v[14:15]
	v_fma_f64 v[6:7], v[4:5], v[6:7], s[10:11]
	;; [unrolled: 1-line block ×9, first 2 shown]
	v_fma_f64 v[6:7], v[4:5], v[6:7], 1.0
	v_fma_f64 v[4:5], v[4:5], v[6:7], 1.0
	v_ldexp_f64 v[2:3], v[4:5], v2
	v_add_f64 v[2:3], v[2:3], 1.0
	v_div_scale_f64 v[4:5], s[0:1], v[2:3], v[2:3], 1.0
	v_cmp_ngt_f64_e64 s[0:1], s[28:29], v[0:1]
	v_rcp_f64_e32 v[6:7], v[4:5]
	v_fma_f64 v[8:9], -v[4:5], v[6:7], 1.0
	v_fma_f64 v[6:7], v[6:7], v[8:9], v[6:7]
	v_fma_f64 v[8:9], -v[4:5], v[6:7], 1.0
	v_fma_f64 v[6:7], v[6:7], v[8:9], v[6:7]
	v_div_scale_f64 v[8:9], vcc, 1.0, v[2:3], 1.0
	v_mul_f64 v[10:11], v[8:9], v[6:7]
	v_fma_f64 v[4:5], -v[4:5], v[10:11], v[8:9]
	s_nop 1
	v_div_fmas_f64 v[4:5], v[4:5], v[6:7], v[10:11]
	v_cmp_nlt_f64_e32 vcc, s[24:25], v[0:1]
	v_div_fixup_f64 v[2:3], v[4:5], v[2:3], 1.0
	v_cndmask_b32_e32 v3, 0, v3, vcc
	s_and_b64 vcc, s[0:1], vcc
	v_cndmask_b32_e32 v12, 0, v2, vcc
	v_mov_b32_e32 v2, 0x3ff00000
	v_cndmask_b32_e64 v13, v2, v3, s[0:1]
	s_mov_b32 s0, 0
	s_mov_b32 s1, 0x40180000
	v_div_scale_f64 v[0:1], s[36:37], s[0:1], s[0:1], v[30:31]
	s_mov_b32 s36, 0
	s_brev_b32 s37, 8
	v_rcp_f64_e32 v[3:4], v[0:1]
	v_fma_f64 v[5:6], -v[0:1], v[3:4], 1.0
	v_fma_f64 v[3:4], v[3:4], v[5:6], v[3:4]
	v_fma_f64 v[5:6], -v[0:1], v[3:4], 1.0
	v_fma_f64 v[3:4], v[3:4], v[5:6], v[3:4]
	v_div_scale_f64 v[5:6], vcc, v[30:31], s[0:1], v[30:31]
	v_mul_f64 v[7:8], v[5:6], v[3:4]
	v_fma_f64 v[0:1], -v[0:1], v[7:8], v[5:6]
	s_nop 1
	v_div_fmas_f64 v[0:1], v[0:1], v[3:4], v[7:8]
	v_div_fixup_f64 v[46:47], v[0:1], s[0:1], v[30:31]
	s_mov_b32 s1, 0x3feaaaaa
	s_mov_b32 s0, 0xaaaaaaab
	v_add_f64 v[0:1], -v[46:47], s[0:1]
	s_mov_b32 s1, 0xc002aaaa
	v_mul_f64 v[3:4], v[0:1], s[2:3]
	v_cmp_nlt_f64_e32 vcc, s[24:25], v[0:1]
	v_rndne_f64_e32 v[3:4], v[3:4]
	v_fma_f64 v[5:6], v[3:4], s[4:5], v[0:1]
	v_fma_f64 v[5:6], v[3:4], s[6:7], v[5:6]
	v_cvt_i32_f64_e32 v3, v[3:4]
	v_fma_f64 v[7:8], v[5:6], s[8:9], v[14:15]
	v_fma_f64 v[7:8], v[5:6], v[7:8], s[10:11]
	;; [unrolled: 1-line block ×9, first 2 shown]
	v_fma_f64 v[7:8], v[5:6], v[7:8], 1.0
	v_fma_f64 v[5:6], v[5:6], v[7:8], 1.0
	v_ldexp_f64 v[3:4], v[5:6], v3
	v_mov_b32_e32 v5, 0x7ff00000
	v_add_f64 v[3:4], v[3:4], 1.0
	v_cndmask_b32_e32 v4, v5, v4, vcc
	v_cndmask_b32_e32 v3, 0, v3, vcc
	v_cmp_gt_f64_e32 vcc, s[36:37], v[3:4]
	v_mov_b32_e32 v5, 0x100
	s_mov_b32 s36, 0
	s_mov_b32 s37, 0x4095e000
	v_cndmask_b32_e32 v5, 0, v5, vcc
	v_ldexp_f64 v[3:4], v[3:4], v5
	v_rsq_f64_e32 v[5:6], v[3:4]
	v_mul_f64 v[7:8], v[3:4], v[5:6]
	v_mul_f64 v[5:6], v[5:6], 0.5
	v_fma_f64 v[9:10], -v[5:6], v[7:8], 0.5
	v_fma_f64 v[7:8], v[7:8], v[9:10], v[7:8]
	v_fma_f64 v[5:6], v[5:6], v[9:10], v[5:6]
	v_fma_f64 v[16:17], -v[7:8], v[7:8], v[3:4]
	v_fma_f64 v[7:8], v[16:17], v[5:6], v[7:8]
	v_fma_f64 v[9:10], -v[7:8], v[7:8], v[3:4]
	v_fma_f64 v[5:6], v[9:10], v[5:6], v[7:8]
	v_mov_b32_e32 v7, 0xffffff80
	v_cndmask_b32_e32 v7, 0, v7, vcc
	v_ldexp_f64 v[5:6], v[5:6], v7
	v_mov_b32_e32 v7, 0x260
	v_cmp_class_f64_e32 vcc, v[3:4], v7
	v_cndmask_b32_e32 v4, v6, v4, vcc
	v_cndmask_b32_e32 v3, v5, v3, vcc
	v_div_scale_f64 v[5:6], s[38:39], v[3:4], v[3:4], s[36:37]
	v_rcp_f64_e32 v[7:8], v[5:6]
	v_fma_f64 v[9:10], -v[5:6], v[7:8], 1.0
	v_fma_f64 v[7:8], v[7:8], v[9:10], v[7:8]
	v_fma_f64 v[9:10], -v[5:6], v[7:8], 1.0
	v_fma_f64 v[7:8], v[7:8], v[9:10], v[7:8]
	v_div_scale_f64 v[9:10], vcc, s[36:37], v[3:4], s[36:37]
	v_mul_f64 v[16:17], v[9:10], v[7:8]
	v_fma_f64 v[5:6], -v[5:6], v[16:17], v[9:10]
	s_nop 1
	v_div_fmas_f64 v[5:6], v[5:6], v[7:8], v[16:17]
	v_cmp_ngt_f64_e32 vcc, s[28:29], v[0:1]
	v_mov_b32_e32 v0, 0x4095e000
	v_div_fixup_f64 v[3:4], v[5:6], v[3:4], s[36:37]
	s_mov_b32 s36, 0
	s_mov_b32 s37, 0x402e0000
	v_cndmask_b32_e32 v7, v0, v4, vcc
	v_div_scale_f64 v[0:1], s[38:39], s[36:37], s[36:37], v[30:31]
	v_cndmask_b32_e32 v6, 0, v3, vcc
	v_rcp_f64_e32 v[3:4], v[0:1]
	v_fma_f64 v[8:9], -v[0:1], v[3:4], 1.0
	v_fma_f64 v[3:4], v[3:4], v[8:9], v[3:4]
	v_fma_f64 v[8:9], -v[0:1], v[3:4], 1.0
	v_fma_f64 v[3:4], v[3:4], v[8:9], v[3:4]
	v_div_scale_f64 v[8:9], vcc, v[30:31], s[36:37], v[30:31]
	v_mul_f64 v[10:11], v[8:9], v[3:4]
	v_fma_f64 v[0:1], -v[0:1], v[10:11], v[8:9]
	s_nop 1
	v_div_fmas_f64 v[0:1], v[0:1], v[3:4], v[10:11]
	v_div_fixup_f64 v[0:1], v[0:1], s[36:37], v[30:31]
	v_add_f64 v[0:1], v[0:1], s[0:1]
	v_mul_f64 v[3:4], v[0:1], s[2:3]
	v_rndne_f64_e32 v[3:4], v[3:4]
	v_fma_f64 v[8:9], v[3:4], s[4:5], v[0:1]
	v_fma_f64 v[8:9], v[3:4], s[6:7], v[8:9]
	v_cvt_i32_f64_e32 v3, v[3:4]
	v_fma_f64 v[10:11], v[8:9], s[8:9], v[14:15]
	v_fma_f64 v[10:11], v[8:9], v[10:11], s[10:11]
	;; [unrolled: 1-line block ×9, first 2 shown]
	v_fma_f64 v[10:11], v[8:9], v[10:11], 1.0
	v_fma_f64 v[8:9], v[8:9], v[10:11], 1.0
	v_ldexp_f64 v[3:4], v[8:9], v3
	v_add_f64 v[3:4], v[3:4], 1.0
	v_div_scale_f64 v[8:9], s[0:1], v[3:4], v[3:4], 1.0
	v_cmp_ngt_f64_e64 s[0:1], s[28:29], v[0:1]
	v_rcp_f64_e32 v[10:11], v[8:9]
	v_fma_f64 v[14:15], -v[8:9], v[10:11], 1.0
	v_fma_f64 v[10:11], v[10:11], v[14:15], v[10:11]
	v_fma_f64 v[14:15], -v[8:9], v[10:11], 1.0
	v_fma_f64 v[10:11], v[10:11], v[14:15], v[10:11]
	v_div_scale_f64 v[14:15], vcc, 1.0, v[3:4], 1.0
	v_mul_f64 v[16:17], v[14:15], v[10:11]
	v_fma_f64 v[8:9], -v[8:9], v[16:17], v[14:15]
	s_nop 1
	v_div_fmas_f64 v[8:9], v[8:9], v[10:11], v[16:17]
	v_cmp_nlt_f64_e32 vcc, s[24:25], v[0:1]
	v_div_fixup_f64 v[3:4], v[8:9], v[3:4], 1.0
	v_cndmask_b32_e32 v4, 0, v4, vcc
	s_and_b64 vcc, s[0:1], vcc
	v_cndmask_b32_e64 v1, v2, v4, s[0:1]
	s_mov_b32 s0, 0
	v_cndmask_b32_e32 v0, 0, v3, vcc
	s_mov_b32 s1, 0x40540000
	v_fma_f64 v[2:3], v[0:1], v[6:7], s[0:1]
	buffer_load_dword v0, off, s[56:59], 0 offset:168 ; 4-byte Folded Reload
	buffer_load_dword v1, off, s[56:59], 0 offset:172 ; 4-byte Folded Reload
	s_waitcnt vmcnt(0)
	v_add_f64 v[0:1], v[12:13], -v[0:1]
	v_div_scale_f64 v[4:5], s[0:1], v[2:3], v[2:3], v[0:1]
	v_rcp_f64_e32 v[6:7], v[4:5]
	v_fma_f64 v[8:9], -v[4:5], v[6:7], 1.0
	v_fma_f64 v[6:7], v[6:7], v[8:9], v[6:7]
	v_fma_f64 v[8:9], -v[4:5], v[6:7], 1.0
	v_fma_f64 v[6:7], v[6:7], v[8:9], v[6:7]
	v_div_scale_f64 v[8:9], vcc, v[0:1], v[2:3], v[0:1]
	v_mul_f64 v[10:11], v[8:9], v[6:7]
	v_fma_f64 v[4:5], -v[4:5], v[10:11], v[8:9]
	s_nop 1
	v_div_fmas_f64 v[4:5], v[4:5], v[6:7], v[10:11]
	v_div_fixup_f64 v[6:7], v[4:5], v[2:3], v[0:1]
	v_div_scale_f64 v[0:1], s[0:1], v[2:3], v[2:3], -1.0
	s_mov_b32 s0, 0xe2308c3a
	s_mov_b32 s1, 0x3e45798e
	v_rcp_f64_e32 v[4:5], v[0:1]
	v_fma_f64 v[8:9], -v[0:1], v[4:5], 1.0
	v_fma_f64 v[4:5], v[4:5], v[8:9], v[4:5]
	v_fma_f64 v[8:9], -v[0:1], v[4:5], 1.0
	v_fma_f64 v[4:5], v[4:5], v[8:9], v[4:5]
	v_div_scale_f64 v[8:9], vcc, -1.0, v[2:3], -1.0
	v_mul_f64 v[10:11], v[8:9], v[4:5]
	v_fma_f64 v[0:1], -v[0:1], v[10:11], v[8:9]
	s_nop 1
	v_div_fmas_f64 v[0:1], v[0:1], v[4:5], v[10:11]
                                        ; implicit-def: $vgpr4_vgpr5
	v_div_fixup_f64 v[2:3], v[0:1], v[2:3], -1.0
	v_cmp_ngt_f64_e64 s[0:1], |v[2:3]|, s[0:1]
	s_and_saveexec_b64 s[2:3], s[0:1]
	s_xor_b64 s[0:1], exec, s[2:3]
; %bb.10:
	v_mul_f64 v[4:5], s[16:17], v[6:7]
                                        ; implicit-def: $vgpr2_vgpr3
                                        ; implicit-def: $vgpr6_vgpr7
; %bb.11:
	s_andn2_saveexec_b64 s[2:3], s[0:1]
	s_cbranch_execz .LBB0_13
; %bb.12:
	v_mul_f64 v[0:1], s[16:17], v[2:3]
	s_mov_b32 s0, 0x652b82fe
	s_mov_b32 s1, 0x3ff71547
	v_mov_b32_e32 v10, 0xfca7ab0c
	v_mov_b32_e32 v11, 0x3e928af3
	s_mov_b32 s4, 0
	s_mov_b32 s5, 0xc090cc00
	v_mul_f64 v[4:5], v[0:1], s[0:1]
	s_mov_b32 s0, 0xfefa39ef
	s_mov_b32 s1, 0xbfe62e42
	v_rndne_f64_e32 v[4:5], v[4:5]
	v_fma_f64 v[8:9], v[4:5], s[0:1], v[0:1]
	s_mov_b32 s0, 0x3b39803f
	s_mov_b32 s1, 0xbc7abc9e
	v_fma_f64 v[8:9], v[4:5], s[0:1], v[8:9]
	s_mov_b32 s0, 0x6a5dcb37
	s_mov_b32 s1, 0x3e5ade15
	v_cvt_i32_f64_e32 v4, v[4:5]
	v_fma_f64 v[10:11], v[8:9], s[0:1], v[10:11]
	s_mov_b32 s0, 0x623fde64
	s_mov_b32 s1, 0x3ec71dee
	v_fma_f64 v[10:11], v[8:9], v[10:11], s[0:1]
	s_mov_b32 s0, 0x7c89e6b0
	s_mov_b32 s1, 0x3efa0199
	;; [unrolled: 3-line block ×9, first 2 shown]
	v_cmp_nlt_f64_e32 vcc, s[0:1], v[0:1]
	v_cmp_ngt_f64_e64 s[0:1], s[4:5], v[0:1]
	v_fma_f64 v[10:11], v[8:9], v[10:11], 1.0
	v_fma_f64 v[8:9], v[8:9], v[10:11], 1.0
	v_ldexp_f64 v[4:5], v[8:9], v4
	v_mov_b32_e32 v8, 0x7ff00000
	v_mov_b32_e32 v9, 0xbff00000
	v_add_f64 v[4:5], v[4:5], -1.0
	v_cndmask_b32_e32 v5, v8, v5, vcc
	s_and_b64 vcc, s[0:1], vcc
	v_cndmask_b32_e64 v1, v9, v5, s[0:1]
	v_cndmask_b32_e32 v0, 0, v4, vcc
	v_mul_f64 v[0:1], v[6:7], v[0:1]
	v_div_scale_f64 v[4:5], s[0:1], v[2:3], v[2:3], v[0:1]
	v_div_scale_f64 v[10:11], vcc, v[0:1], v[2:3], v[0:1]
	v_rcp_f64_e32 v[6:7], v[4:5]
	v_fma_f64 v[8:9], -v[4:5], v[6:7], 1.0
	v_fma_f64 v[6:7], v[6:7], v[8:9], v[6:7]
	v_fma_f64 v[8:9], -v[4:5], v[6:7], 1.0
	v_fma_f64 v[6:7], v[6:7], v[8:9], v[6:7]
	v_mul_f64 v[8:9], v[10:11], v[6:7]
	v_fma_f64 v[4:5], -v[4:5], v[8:9], v[10:11]
	v_div_fmas_f64 v[4:5], v[4:5], v[6:7], v[8:9]
	v_div_fixup_f64 v[4:5], v[4:5], v[2:3], v[0:1]
.LBB0_13:
	s_or_b64 exec, exec, s[2:3]
	buffer_load_dword v0, off, s[56:59], 0 offset:168 ; 4-byte Folded Reload
	buffer_load_dword v1, off, s[56:59], 0 offset:172 ; 4-byte Folded Reload
	buffer_load_dword v2, off, s[56:59], 0 offset:352 ; 4-byte Folded Reload
	buffer_load_dword v3, off, s[56:59], 0 offset:356 ; 4-byte Folded Reload
	s_mov_b32 s0, 0xf8a106f3
	s_mov_b32 s1, 0xbfbc5995
	;; [unrolled: 1-line block ×20, first 2 shown]
	s_waitcnt vmcnt(2)
	v_add_f64 v[0:1], v[0:1], v[4:5]
	s_waitcnt vmcnt(0)
	global_store_dwordx2 v[2:3], v[0:1], off
	v_mul_f64 v[0:1], v[30:31], s[0:1]
	s_mov_b32 s0, 0xfca7ab0c
	s_mov_b32 s1, 0x3e928af3
	v_mov_b32_e32 v13, s1
	v_mov_b32_e32 v12, s0
	s_mov_b32 s0, 0x9f942391
	s_mov_b32 s1, 0x3f5e2ecb
	v_mul_f64 v[2:3], v[0:1], s[2:3]
	v_cmp_nlt_f64_e32 vcc, s[22:23], v[0:1]
	v_rndne_f64_e32 v[2:3], v[2:3]
	v_fma_f64 v[4:5], v[2:3], s[4:5], v[0:1]
	v_fma_f64 v[4:5], v[2:3], s[6:7], v[4:5]
	v_cvt_i32_f64_e32 v2, v[2:3]
	v_fma_f64 v[6:7], v[4:5], s[8:9], v[12:13]
	v_fma_f64 v[6:7], v[4:5], v[6:7], s[10:11]
	;; [unrolled: 1-line block ×9, first 2 shown]
	v_fma_f64 v[6:7], v[4:5], v[6:7], 1.0
	v_fma_f64 v[4:5], v[4:5], v[6:7], 1.0
	v_ldexp_f64 v[2:3], v[4:5], v2
	v_mov_b32_e32 v4, 0x7ff00000
	v_fma_f64 v[2:3], v[2:3], s[0:1], 1.0
	v_cmp_ngt_f64_e64 s[0:1], s[12:13], v[0:1]
	v_cndmask_b32_e32 v3, v4, v3, vcc
	s_and_b64 vcc, s[0:1], vcc
	v_cndmask_b32_e32 v0, 0, v2, vcc
	v_mov_b32_e32 v2, 0x3ff00000
	v_cndmask_b32_e64 v1, v2, v3, s[0:1]
	v_mul_f64 v[0:1], v[0:1], v[0:1]
	v_div_scale_f64 v[3:4], s[0:1], v[0:1], v[0:1], 1.0
	s_mov_b32 s0, 0
	s_mov_b32 s1, 0x40140000
	v_rcp_f64_e32 v[5:6], v[3:4]
	v_fma_f64 v[7:8], -v[3:4], v[5:6], 1.0
	v_fma_f64 v[5:6], v[5:6], v[7:8], v[5:6]
	v_fma_f64 v[7:8], -v[3:4], v[5:6], 1.0
	v_fma_f64 v[5:6], v[5:6], v[7:8], v[5:6]
	v_div_scale_f64 v[7:8], vcc, 1.0, v[0:1], 1.0
	v_mul_f64 v[9:10], v[7:8], v[5:6]
	v_fma_f64 v[3:4], -v[3:4], v[9:10], v[7:8]
	s_nop 1
	v_div_fmas_f64 v[3:4], v[3:4], v[5:6], v[9:10]
	v_div_fixup_f64 v[14:15], v[3:4], v[0:1], 1.0
	v_div_scale_f64 v[0:1], s[36:37], s[0:1], s[0:1], v[30:31]
	v_rcp_f64_e32 v[3:4], v[0:1]
	v_fma_f64 v[5:6], -v[0:1], v[3:4], 1.0
	v_fma_f64 v[3:4], v[3:4], v[5:6], v[3:4]
	v_fma_f64 v[5:6], -v[0:1], v[3:4], 1.0
	v_fma_f64 v[3:4], v[3:4], v[5:6], v[3:4]
	v_div_scale_f64 v[5:6], vcc, v[30:31], s[0:1], v[30:31]
	v_mul_f64 v[7:8], v[5:6], v[3:4]
	v_fma_f64 v[0:1], -v[0:1], v[7:8], v[5:6]
	s_nop 1
	v_div_fmas_f64 v[0:1], v[0:1], v[3:4], v[7:8]
	v_div_fixup_f64 v[8:9], v[0:1], s[0:1], v[30:31]
	s_mov_b32 s0, 0
	s_mov_b32 s1, 0xc0280000
	v_add_f64 v[0:1], -v[8:9], s[0:1]
	v_mul_f64 v[3:4], v[0:1], s[2:3]
	v_rndne_f64_e32 v[3:4], v[3:4]
	v_fma_f64 v[5:6], v[3:4], s[4:5], v[0:1]
	v_fma_f64 v[5:6], v[3:4], s[6:7], v[5:6]
	v_cvt_i32_f64_e32 v3, v[3:4]
	v_fma_f64 v[10:11], v[5:6], s[8:9], v[12:13]
	v_fma_f64 v[10:11], v[5:6], v[10:11], s[10:11]
	;; [unrolled: 1-line block ×9, first 2 shown]
	v_fma_f64 v[10:11], v[5:6], v[10:11], 1.0
	v_fma_f64 v[5:6], v[5:6], v[10:11], 1.0
	v_ldexp_f64 v[3:4], v[5:6], v3
	v_add_f64 v[3:4], v[3:4], 1.0
	v_div_scale_f64 v[5:6], s[0:1], v[3:4], v[3:4], 1.0
	v_cmp_ngt_f64_e64 s[0:1], s[12:13], v[0:1]
	v_rcp_f64_e32 v[10:11], v[5:6]
	v_fma_f64 v[16:17], -v[5:6], v[10:11], 1.0
	v_fma_f64 v[10:11], v[10:11], v[16:17], v[10:11]
	v_fma_f64 v[16:17], -v[5:6], v[10:11], 1.0
	v_fma_f64 v[10:11], v[10:11], v[16:17], v[10:11]
	v_div_scale_f64 v[16:17], vcc, 1.0, v[3:4], 1.0
	v_mul_f64 v[18:19], v[16:17], v[10:11]
	v_fma_f64 v[5:6], -v[5:6], v[18:19], v[16:17]
	s_nop 1
	v_div_fmas_f64 v[5:6], v[5:6], v[10:11], v[18:19]
	v_cmp_nlt_f64_e32 vcc, s[22:23], v[0:1]
	v_div_fixup_f64 v[3:4], v[5:6], v[3:4], 1.0
	v_cndmask_b32_e32 v4, 0, v4, vcc
	s_and_b64 vcc, s[0:1], vcc
	v_cndmask_b32_e64 v19, v2, v4, s[0:1]
	s_mov_b32 s0, 0
	s_mov_b32 s1, 0x401c0000
	v_add_f64 v[0:1], v[8:9], s[0:1]
	v_cndmask_b32_e32 v18, 0, v3, vcc
	s_mov_b32 s0, 0x9999999a
	s_mov_b32 s1, 0x3fb99999
	v_mul_f64 v[2:3], v[0:1], s[2:3]
	v_rndne_f64_e32 v[2:3], v[2:3]
	v_fma_f64 v[4:5], v[2:3], s[4:5], v[0:1]
	v_fma_f64 v[4:5], v[2:3], s[6:7], v[4:5]
	v_cvt_i32_f64_e32 v2, v[2:3]
	v_fma_f64 v[6:7], v[4:5], s[8:9], v[12:13]
	v_fma_f64 v[6:7], v[4:5], v[6:7], s[10:11]
	;; [unrolled: 1-line block ×9, first 2 shown]
	v_fma_f64 v[6:7], v[4:5], v[6:7], 1.0
	v_fma_f64 v[4:5], v[4:5], v[6:7], 1.0
	v_ldexp_f64 v[2:3], v[4:5], v2
	v_add_f64 v[2:3], v[2:3], 1.0
	v_div_scale_f64 v[4:5], s[36:37], v[2:3], v[2:3], s[0:1]
	s_mov_b32 s36, 0
	s_mov_b32 s37, 0x40690000
	v_rcp_f64_e32 v[6:7], v[4:5]
	v_fma_f64 v[10:11], -v[4:5], v[6:7], 1.0
	v_fma_f64 v[6:7], v[6:7], v[10:11], v[6:7]
	v_fma_f64 v[10:11], -v[4:5], v[6:7], 1.0
	v_fma_f64 v[6:7], v[6:7], v[10:11], v[6:7]
	v_div_scale_f64 v[10:11], vcc, s[0:1], v[2:3], s[0:1]
	v_mul_f64 v[16:17], v[10:11], v[6:7]
	v_fma_f64 v[4:5], -v[4:5], v[16:17], v[10:11]
	s_nop 1
	v_div_fmas_f64 v[4:5], v[4:5], v[6:7], v[16:17]
	v_cmp_nlt_f64_e32 vcc, s[22:23], v[0:1]
	v_div_fixup_f64 v[2:3], v[4:5], v[2:3], s[0:1]
	v_cndmask_b32_e32 v4, 0, v2, vcc
	v_cndmask_b32_e32 v3, 0, v3, vcc
	v_cmp_ngt_f64_e32 vcc, s[12:13], v[0:1]
	v_div_scale_f64 v[0:1], s[38:39], s[36:37], s[36:37], v[30:31]
	v_mov_b32_e32 v2, 0x3fb99999
	v_cndmask_b32_e32 v7, v2, v3, vcc
	v_mov_b32_e32 v3, 0x9999999a
	v_cndmask_b32_e32 v6, v3, v4, vcc
	v_rcp_f64_e32 v[4:5], v[0:1]
	v_fma_f64 v[10:11], -v[0:1], v[4:5], 1.0
	v_fma_f64 v[4:5], v[4:5], v[10:11], v[4:5]
	v_fma_f64 v[10:11], -v[0:1], v[4:5], 1.0
	v_fma_f64 v[4:5], v[4:5], v[10:11], v[4:5]
	v_div_scale_f64 v[10:11], vcc, v[30:31], s[36:37], v[30:31]
	v_mul_f64 v[16:17], v[10:11], v[4:5]
	v_fma_f64 v[0:1], -v[0:1], v[16:17], v[10:11]
	s_nop 1
	v_div_fmas_f64 v[0:1], v[0:1], v[4:5], v[16:17]
	v_div_fixup_f64 v[0:1], v[0:1], s[36:37], v[30:31]
	s_mov_b32 s36, 0
	s_mov_b32 s37, 0xbfd00000
	v_add_f64 v[0:1], v[0:1], s[36:37]
	v_mul_f64 v[4:5], v[0:1], s[2:3]
	v_rndne_f64_e32 v[4:5], v[4:5]
	v_fma_f64 v[10:11], v[4:5], s[4:5], v[0:1]
	v_fma_f64 v[10:11], v[4:5], s[6:7], v[10:11]
	v_cvt_i32_f64_e32 v4, v[4:5]
	v_fma_f64 v[12:13], v[10:11], s[8:9], v[12:13]
	v_fma_f64 v[12:13], v[10:11], v[12:13], s[10:11]
	;; [unrolled: 1-line block ×9, first 2 shown]
	v_fma_f64 v[12:13], v[10:11], v[12:13], 1.0
	v_fma_f64 v[10:11], v[10:11], v[12:13], 1.0
	v_ldexp_f64 v[4:5], v[10:11], v4
	v_add_f64 v[4:5], v[4:5], 1.0
	v_div_scale_f64 v[10:11], s[2:3], v[4:5], v[4:5], s[0:1]
	v_rcp_f64_e32 v[12:13], v[10:11]
	v_fma_f64 v[16:17], -v[10:11], v[12:13], 1.0
	v_fma_f64 v[12:13], v[12:13], v[16:17], v[12:13]
	v_fma_f64 v[16:17], -v[10:11], v[12:13], 1.0
	v_fma_f64 v[12:13], v[12:13], v[16:17], v[12:13]
	v_div_scale_f64 v[16:17], vcc, s[0:1], v[4:5], s[0:1]
	v_mul_f64 v[20:21], v[16:17], v[12:13]
	v_fma_f64 v[10:11], -v[10:11], v[20:21], v[16:17]
	s_nop 1
	v_div_fmas_f64 v[10:11], v[10:11], v[12:13], v[20:21]
	v_cmp_nlt_f64_e32 vcc, s[22:23], v[0:1]
	v_div_fixup_f64 v[4:5], v[10:11], v[4:5], s[0:1]
	v_cndmask_b32_e32 v4, 0, v4, vcc
	v_cndmask_b32_e32 v5, 0, v5, vcc
	v_cmp_ngt_f64_e32 vcc, s[12:13], v[0:1]
	v_cndmask_b32_e32 v1, v2, v5, vcc
	v_cndmask_b32_e32 v0, v3, v4, vcc
	buffer_load_dword v2, off, s[56:59], 0 offset:184 ; 4-byte Folded Reload
	buffer_load_dword v3, off, s[56:59], 0 offset:188 ; 4-byte Folded Reload
	v_add_f64 v[0:1], v[6:7], v[0:1]
	v_mul_f64 v[0:1], v[18:19], v[0:1]
	s_waitcnt vmcnt(0)
	v_add_f64 v[2:3], v[14:15], -v[2:3]
	v_div_scale_f64 v[4:5], s[0:1], v[0:1], v[0:1], v[2:3]
	v_rcp_f64_e32 v[6:7], v[4:5]
	v_fma_f64 v[10:11], -v[4:5], v[6:7], 1.0
	v_fma_f64 v[6:7], v[6:7], v[10:11], v[6:7]
	v_fma_f64 v[10:11], -v[4:5], v[6:7], 1.0
	v_fma_f64 v[6:7], v[6:7], v[10:11], v[6:7]
	v_div_scale_f64 v[10:11], vcc, v[2:3], v[0:1], v[2:3]
	v_mul_f64 v[12:13], v[10:11], v[6:7]
	v_fma_f64 v[4:5], -v[4:5], v[12:13], v[10:11]
	s_nop 1
	v_div_fmas_f64 v[4:5], v[4:5], v[6:7], v[12:13]
	v_div_fixup_f64 v[6:7], v[4:5], v[0:1], v[2:3]
	v_div_scale_f64 v[2:3], s[0:1], v[0:1], v[0:1], -1.0
	s_mov_b32 s0, 0xe2308c3a
	s_mov_b32 s1, 0x3e45798e
	v_rcp_f64_e32 v[4:5], v[2:3]
	v_fma_f64 v[10:11], -v[2:3], v[4:5], 1.0
	v_fma_f64 v[4:5], v[4:5], v[10:11], v[4:5]
	v_fma_f64 v[10:11], -v[2:3], v[4:5], 1.0
	v_fma_f64 v[4:5], v[4:5], v[10:11], v[4:5]
	v_div_scale_f64 v[10:11], vcc, -1.0, v[0:1], -1.0
	v_mul_f64 v[12:13], v[10:11], v[4:5]
	v_fma_f64 v[2:3], -v[2:3], v[12:13], v[10:11]
	s_nop 1
	v_div_fmas_f64 v[2:3], v[2:3], v[4:5], v[12:13]
                                        ; implicit-def: $vgpr4_vgpr5
	v_div_fixup_f64 v[2:3], v[2:3], v[0:1], -1.0
	v_cmp_ngt_f64_e64 s[0:1], |v[2:3]|, s[0:1]
	s_and_saveexec_b64 s[2:3], s[0:1]
	s_xor_b64 s[0:1], exec, s[2:3]
; %bb.14:
	v_mul_f64 v[4:5], s[16:17], v[6:7]
                                        ; implicit-def: $vgpr2_vgpr3
                                        ; implicit-def: $vgpr6_vgpr7
; %bb.15:
	s_andn2_saveexec_b64 s[2:3], s[0:1]
	s_cbranch_execz .LBB0_17
; %bb.16:
	v_mul_f64 v[0:1], s[16:17], v[2:3]
	s_mov_b32 s0, 0x652b82fe
	s_mov_b32 s1, 0x3ff71547
	v_mov_b32_e32 v12, 0xfca7ab0c
	v_mov_b32_e32 v13, 0x3e928af3
	s_mov_b32 s4, 0
	s_mov_b32 s5, 0xc090cc00
	v_mul_f64 v[4:5], v[0:1], s[0:1]
	s_mov_b32 s0, 0xfefa39ef
	s_mov_b32 s1, 0xbfe62e42
	v_rndne_f64_e32 v[4:5], v[4:5]
	v_fma_f64 v[10:11], v[4:5], s[0:1], v[0:1]
	s_mov_b32 s0, 0x3b39803f
	s_mov_b32 s1, 0xbc7abc9e
	v_fma_f64 v[10:11], v[4:5], s[0:1], v[10:11]
	s_mov_b32 s0, 0x6a5dcb37
	s_mov_b32 s1, 0x3e5ade15
	v_cvt_i32_f64_e32 v4, v[4:5]
	v_fma_f64 v[12:13], v[10:11], s[0:1], v[12:13]
	s_mov_b32 s0, 0x623fde64
	s_mov_b32 s1, 0x3ec71dee
	v_fma_f64 v[12:13], v[10:11], v[12:13], s[0:1]
	s_mov_b32 s0, 0x7c89e6b0
	s_mov_b32 s1, 0x3efa0199
	;; [unrolled: 3-line block ×9, first 2 shown]
	v_cmp_nlt_f64_e32 vcc, s[0:1], v[0:1]
	v_cmp_ngt_f64_e64 s[0:1], s[4:5], v[0:1]
	v_fma_f64 v[12:13], v[10:11], v[12:13], 1.0
	v_fma_f64 v[10:11], v[10:11], v[12:13], 1.0
	v_ldexp_f64 v[4:5], v[10:11], v4
	v_mov_b32_e32 v10, 0x7ff00000
	v_mov_b32_e32 v11, 0xbff00000
	v_add_f64 v[4:5], v[4:5], -1.0
	v_cndmask_b32_e32 v5, v10, v5, vcc
	s_and_b64 vcc, s[0:1], vcc
	v_cndmask_b32_e64 v1, v11, v5, s[0:1]
	v_cndmask_b32_e32 v0, 0, v4, vcc
	v_mul_f64 v[0:1], v[6:7], v[0:1]
	v_div_scale_f64 v[4:5], s[0:1], v[2:3], v[2:3], v[0:1]
	v_div_scale_f64 v[12:13], vcc, v[0:1], v[2:3], v[0:1]
	v_rcp_f64_e32 v[6:7], v[4:5]
	v_fma_f64 v[10:11], -v[4:5], v[6:7], 1.0
	v_fma_f64 v[6:7], v[6:7], v[10:11], v[6:7]
	v_fma_f64 v[10:11], -v[4:5], v[6:7], 1.0
	v_fma_f64 v[6:7], v[6:7], v[10:11], v[6:7]
	v_mul_f64 v[10:11], v[12:13], v[6:7]
	v_fma_f64 v[4:5], -v[4:5], v[10:11], v[12:13]
	v_div_fmas_f64 v[4:5], v[4:5], v[6:7], v[10:11]
	v_div_fixup_f64 v[4:5], v[4:5], v[2:3], v[0:1]
.LBB0_17:
	s_or_b64 exec, exec, s[2:3]
	buffer_load_dword v0, off, s[56:59], 0 offset:184 ; 4-byte Folded Reload
	buffer_load_dword v1, off, s[56:59], 0 offset:188 ; 4-byte Folded Reload
	;; [unrolled: 1-line block ×4, first 2 shown]
	s_mov_b32 s0, 0
	s_mov_b32 s1, 0xc0440000
	v_cmp_ngt_f64_e32 vcc, s[0:1], v[30:31]
	v_cmp_gt_f64_e64 s[0:1], s[0:1], v[30:31]
	v_mov_b32_e32 v14, 0
	v_mov_b32_e32 v15, 0
	s_waitcnt vmcnt(2)
	v_add_f64 v[0:1], v[0:1], v[4:5]
	s_waitcnt vmcnt(0)
	global_store_dwordx2 v[2:3], v[0:1], off
	s_and_saveexec_b64 s[6:7], s[0:1]
	s_cbranch_execz .LBB0_19
; %bb.18:
	s_mov_b32 s2, 0xd2d2d2db
	s_mov_b32 s3, 0xbfc2d2d2
	v_mul_f64 v[0:1], v[30:31], s[2:3]
	s_mov_b32 s2, 0x652b82fe
	s_mov_b32 s3, 0x3ff71547
	v_mov_b32_e32 v6, 0xfca7ab0c
	v_mov_b32_e32 v7, 0x3e928af3
	s_mov_b32 s4, 0
	s_mov_b32 s5, 0xc090cc00
	v_mul_f64 v[2:3], v[0:1], s[2:3]
	s_mov_b32 s2, 0xfefa39ef
	s_mov_b32 s3, 0xbfe62e42
	v_cmp_ngt_f64_e64 s[4:5], s[4:5], v[0:1]
	v_rndne_f64_e32 v[2:3], v[2:3]
	v_fma_f64 v[4:5], v[2:3], s[2:3], v[0:1]
	s_mov_b32 s2, 0x3b39803f
	s_mov_b32 s3, 0xbc7abc9e
	v_fma_f64 v[4:5], v[2:3], s[2:3], v[4:5]
	s_mov_b32 s2, 0x6a5dcb37
	s_mov_b32 s3, 0x3e5ade15
	v_cvt_i32_f64_e32 v2, v[2:3]
	v_fma_f64 v[6:7], v[4:5], s[2:3], v[6:7]
	s_mov_b32 s2, 0x623fde64
	s_mov_b32 s3, 0x3ec71dee
	v_fma_f64 v[6:7], v[4:5], v[6:7], s[2:3]
	s_mov_b32 s2, 0x7c89e6b0
	s_mov_b32 s3, 0x3efa0199
	;; [unrolled: 3-line block ×9, first 2 shown]
	v_fma_f64 v[6:7], v[4:5], v[6:7], 1.0
	v_fma_f64 v[4:5], v[4:5], v[6:7], 1.0
	v_ldexp_f64 v[2:3], v[4:5], v2
	v_mov_b32_e32 v4, 0x7ff00000
	v_mul_f64 v[2:3], v[2:3], s[2:3]
	s_mov_b32 s2, 0
	s_mov_b32 s3, 0x40900000
	v_cmp_nlt_f64_e64 s[2:3], s[2:3], v[0:1]
	v_cndmask_b32_e64 v3, v4, v3, s[2:3]
	s_and_b64 s[2:3], s[4:5], s[2:3]
	v_cndmask_b32_e64 v15, 0, v3, s[4:5]
	v_cndmask_b32_e64 v14, 0, v2, s[2:3]
.LBB0_19:
	s_or_b64 exec, exec, s[6:7]
                                        ; implicit-def: $vgpr6_vgpr7
	s_and_saveexec_b64 s[2:3], vcc
	s_xor_b64 s[2:3], exec, s[2:3]
	s_cbranch_execz .LBB0_21
; %bb.20:
	s_mov_b32 s4, 0xe6a17103
	s_mov_b32 s5, 0xbfb71024
	v_mul_f64 v[2:3], v[30:31], s[4:5]
	s_mov_b32 s4, 0x652b82fe
	s_mov_b32 s5, 0x3ff71547
	v_mov_b32_e32 v6, 0xfca7ab0c
	v_mov_b32_e32 v7, 0x3e928af3
	v_mul_f64 v[0:1], v[2:3], s[4:5]
	s_mov_b32 s4, 0xfefa39ef
	s_mov_b32 s5, 0xbfe62e42
	v_rndne_f64_e32 v[0:1], v[0:1]
	v_fma_f64 v[4:5], v[0:1], s[4:5], v[2:3]
	s_mov_b32 s4, 0x3b39803f
	s_mov_b32 s5, 0xbc7abc9e
	v_fma_f64 v[4:5], v[0:1], s[4:5], v[4:5]
	s_mov_b32 s4, 0x6a5dcb37
	s_mov_b32 s5, 0x3e5ade15
	v_cvt_i32_f64_e32 v0, v[0:1]
	v_fma_f64 v[6:7], v[4:5], s[4:5], v[6:7]
	s_mov_b32 s4, 0x623fde64
	s_mov_b32 s5, 0x3ec71dee
	v_fma_f64 v[6:7], v[4:5], v[6:7], s[4:5]
	s_mov_b32 s4, 0x7c89e6b0
	s_mov_b32 s5, 0x3efa0199
	;; [unrolled: 3-line block ×9, first 2 shown]
	v_fma_f64 v[6:7], v[4:5], v[6:7], 1.0
	v_fma_f64 v[4:5], v[4:5], v[6:7], 1.0
	v_ldexp_f64 v[0:1], v[4:5], v0
	v_mov_b32_e32 v4, 0xa3d70a4
	v_mov_b32_e32 v5, 0x3fc0a3d7
	v_fma_f64 v[0:1], v[0:1], s[4:5], v[4:5]
	s_mov_b32 s4, 0xa3d70a4
	s_mov_b32 s5, 0x3fe8a3d7
	v_div_scale_f64 v[4:5], s[6:7], v[0:1], v[0:1], s[4:5]
	s_mov_b32 s6, 0
	s_mov_b32 s7, 0x40900000
	v_rcp_f64_e32 v[6:7], v[4:5]
	v_fma_f64 v[10:11], -v[4:5], v[6:7], 1.0
	v_fma_f64 v[6:7], v[6:7], v[10:11], v[6:7]
	v_div_scale_f64 v[10:11], vcc, s[4:5], v[0:1], s[4:5]
	v_fma_f64 v[12:13], -v[4:5], v[6:7], 1.0
	v_fma_f64 v[6:7], v[6:7], v[12:13], v[6:7]
	v_mul_f64 v[12:13], v[10:11], v[6:7]
	v_fma_f64 v[4:5], -v[4:5], v[12:13], v[10:11]
	v_div_fmas_f64 v[4:5], v[4:5], v[6:7], v[12:13]
	v_cmp_nlt_f64_e32 vcc, s[6:7], v[2:3]
	v_div_fixup_f64 v[0:1], v[4:5], v[0:1], s[4:5]
	s_mov_b32 s4, 0
	s_mov_b32 s5, 0xc090cc00
	v_mov_b32_e32 v4, 0x4017b13b
	v_cndmask_b32_e32 v0, 0, v0, vcc
	v_cndmask_b32_e32 v1, 0, v1, vcc
	v_cmp_ngt_f64_e32 vcc, s[4:5], v[2:3]
	v_cndmask_b32_e32 v7, v4, v1, vcc
	v_mov_b32_e32 v1, 0x13b13b14
	v_cndmask_b32_e32 v6, v1, v0, vcc
	s_andn2_saveexec_b64 s[4:5], s[2:3]
	s_cbranch_execnz .LBB0_22
	s_branch .LBB0_23
.LBB0_21:
	s_andn2_saveexec_b64 s[4:5], s[2:3]
	s_cbranch_execz .LBB0_23
.LBB0_22:
	s_mov_b32 s2, 0xf1a9fbe7
	s_mov_b32 s3, 0x3fd64dd2
	v_mul_f64 v[0:1], v[30:31], s[2:3]
	s_mov_b32 s38, 0x652b82fe
	s_mov_b32 s39, 0x3ff71547
	;; [unrolled: 1-line block ×7, first 2 shown]
	v_mul_f64 v[2:3], v[0:1], s[38:39]
	s_mov_b32 s3, 0x3e928af3
	s_mov_b32 s30, 0x6a5dcb37
	v_mov_b32_e32 v7, s3
	s_mov_b32 s31, 0x3e5ade15
	v_mov_b32_e32 v6, s2
	s_mov_b32 s28, 0x623fde64
	s_mov_b32 s29, 0x3ec71dee
	v_rndne_f64_e32 v[2:3], v[2:3]
	s_mov_b32 s26, 0x7c89e6b0
	s_mov_b32 s27, 0x3efa0199
	s_mov_b32 s24, 0x14761f6e
	s_mov_b32 s25, 0x3f2a01a0
	s_mov_b32 s22, 0x1852b7b0
	s_mov_b32 s23, 0x3f56c16c
	s_mov_b32 s20, 0x11122322
	v_fma_f64 v[4:5], v[2:3], s[36:37], v[0:1]
	s_mov_b32 s21, 0x3f811111
	s_mov_b32 s18, 0x555502a1
	;; [unrolled: 1-line block ×7, first 2 shown]
	v_fma_f64 v[4:5], v[2:3], s[34:35], v[4:5]
	v_cvt_i32_f64_e32 v2, v[2:3]
	s_mov_b32 s2, 0
	s_mov_b32 s6, 0
	;; [unrolled: 1-line block ×5, first 2 shown]
	v_cmp_nlt_f64_e32 vcc, s[6:7], v[0:1]
	v_fma_f64 v[10:11], v[4:5], s[30:31], v[6:7]
	s_mov_b32 s9, 0xc090cc00
	v_fma_f64 v[10:11], v[4:5], v[10:11], s[28:29]
	v_fma_f64 v[10:11], v[4:5], v[10:11], s[26:27]
	v_fma_f64 v[10:11], v[4:5], v[10:11], s[24:25]
	v_fma_f64 v[10:11], v[4:5], v[10:11], s[22:23]
	v_fma_f64 v[10:11], v[4:5], v[10:11], s[20:21]
	v_fma_f64 v[10:11], v[4:5], v[10:11], s[18:19]
	v_fma_f64 v[10:11], v[4:5], v[10:11], s[12:13]
	v_fma_f64 v[10:11], v[4:5], v[10:11], s[10:11]
	v_fma_f64 v[10:11], v[4:5], v[10:11], 1.0
	v_fma_f64 v[4:5], v[4:5], v[10:11], 1.0
	v_mov_b32_e32 v10, 0x7ff00000
	v_ldexp_f64 v[2:3], v[4:5], v2
	v_mul_f64 v[2:3], v[2:3], s[2:3]
	v_cmp_ngt_f64_e64 s[2:3], s[8:9], v[0:1]
	v_cndmask_b32_e32 v3, v10, v3, vcc
	s_and_b64 vcc, s[2:3], vcc
	v_cndmask_b32_e64 v13, 0, v3, s[2:3]
	s_mov_b32 s2, 0x10624dd3
	s_mov_b32 s3, 0x3fb43958
	v_cndmask_b32_e32 v12, 0, v2, vcc
	v_mul_f64 v[2:3], v[30:31], s[2:3]
	s_mov_b32 s2, 0x9999999a
	s_mov_b32 s3, 0x40059999
	v_mul_f64 v[0:1], v[2:3], s[38:39]
	v_cmp_nlt_f64_e32 vcc, s[6:7], v[2:3]
	v_rndne_f64_e32 v[4:5], v[0:1]
	v_fma_f64 v[0:1], v[4:5], s[36:37], v[2:3]
	v_fma_f64 v[0:1], v[4:5], s[34:35], v[0:1]
	v_cvt_i32_f64_e32 v4, v[4:5]
	v_fma_f64 v[6:7], v[0:1], s[30:31], v[6:7]
	v_fma_f64 v[6:7], v[0:1], v[6:7], s[28:29]
	;; [unrolled: 1-line block ×9, first 2 shown]
	v_fma_f64 v[6:7], v[0:1], v[6:7], 1.0
	v_fma_f64 v[0:1], v[0:1], v[6:7], 1.0
	v_ldexp_f64 v[0:1], v[0:1], v4
	v_mul_f64 v[0:1], v[0:1], s[2:3]
	v_cmp_ngt_f64_e64 s[2:3], s[8:9], v[2:3]
	v_cndmask_b32_e32 v1, v10, v1, vcc
	s_and_b64 vcc, s[2:3], vcc
	v_cndmask_b32_e32 v0, 0, v0, vcc
	v_cndmask_b32_e64 v1, 0, v1, s[2:3]
	v_add_f64 v[6:7], v[12:13], v[0:1]
.LBB0_23:
	s_or_b64 exec, exec, s[4:5]
	s_mov_b32 s2, 0x92c72650
	s_mov_b32 s3, 0x3fc13a3a
	v_mul_f64 v[0:1], v[30:31], s[2:3]
	s_mov_b32 s2, 0x652b82fe
	s_mov_b32 s3, 0x3ff71547
	v_mov_b32_e32 v10, 0xfca7ab0c
	v_mov_b32_e32 v11, 0x3e928af3
	v_mul_f64 v[2:3], v[0:1], s[2:3]
	s_mov_b32 s2, 0xfefa39ef
	s_mov_b32 s3, 0xbfe62e42
	v_rndne_f64_e32 v[2:3], v[2:3]
	v_fma_f64 v[4:5], v[2:3], s[2:3], v[0:1]
	s_mov_b32 s2, 0x3b39803f
	s_mov_b32 s3, 0xbc7abc9e
	v_fma_f64 v[4:5], v[2:3], s[2:3], v[4:5]
	s_mov_b32 s2, 0x6a5dcb37
	s_mov_b32 s3, 0x3e5ade15
	v_cvt_i32_f64_e32 v2, v[2:3]
	v_fma_f64 v[10:11], v[4:5], s[2:3], v[10:11]
	s_mov_b32 s2, 0x623fde64
	s_mov_b32 s3, 0x3ec71dee
	v_fma_f64 v[10:11], v[4:5], v[10:11], s[2:3]
	s_mov_b32 s2, 0x7c89e6b0
	s_mov_b32 s3, 0x3efa0199
	;; [unrolled: 3-line block ×9, first 2 shown]
	v_fma_f64 v[10:11], v[4:5], v[10:11], 1.0
	v_fma_f64 v[4:5], v[4:5], v[10:11], 1.0
	v_ldexp_f64 v[2:3], v[4:5], v2
	v_mov_b32_e32 v4, 0x7ff00000
	v_fma_f64 v[2:3], v[2:3], s[2:3], 1.0
	s_mov_b32 s2, 0
	s_mov_b32 s3, 0x40900000
	v_cmp_nlt_f64_e32 vcc, s[2:3], v[0:1]
	s_mov_b32 s2, 0
	s_mov_b32 s3, 0xc090cc00
	v_cmp_ngt_f64_e64 s[2:3], s[2:3], v[0:1]
	v_mov_b32_e32 v1, 0x3ff00000
	v_cndmask_b32_e32 v3, v4, v3, vcc
	s_and_b64 vcc, s[2:3], vcc
	v_cndmask_b32_e32 v0, 0, v2, vcc
	v_cndmask_b32_e64 v1, v1, v3, s[2:3]
	v_mul_f64 v[0:1], v[0:1], v[0:1]
	v_div_scale_f64 v[2:3], s[2:3], v[0:1], v[0:1], 1.0
	v_rcp_f64_e32 v[4:5], v[2:3]
	v_fma_f64 v[10:11], -v[2:3], v[4:5], 1.0
	v_fma_f64 v[4:5], v[4:5], v[10:11], v[4:5]
	v_fma_f64 v[10:11], -v[2:3], v[4:5], 1.0
	v_fma_f64 v[4:5], v[4:5], v[10:11], v[4:5]
	v_div_scale_f64 v[10:11], vcc, 1.0, v[0:1], 1.0
	v_mul_f64 v[12:13], v[10:11], v[4:5]
	v_fma_f64 v[2:3], -v[2:3], v[12:13], v[10:11]
	s_nop 1
	v_div_fmas_f64 v[2:3], v[2:3], v[4:5], v[12:13]
	v_div_fixup_f64 v[12:13], v[2:3], v[0:1], 1.0
	v_add_f64 v[0:1], v[14:15], v[6:7]
	v_div_scale_f64 v[2:3], s[2:3], v[0:1], v[0:1], 1.0
	v_rcp_f64_e32 v[4:5], v[2:3]
	v_fma_f64 v[6:7], -v[2:3], v[4:5], 1.0
	v_fma_f64 v[4:5], v[4:5], v[6:7], v[4:5]
	v_fma_f64 v[6:7], -v[2:3], v[4:5], 1.0
	v_fma_f64 v[4:5], v[4:5], v[6:7], v[4:5]
	v_div_scale_f64 v[6:7], vcc, 1.0, v[0:1], 1.0
	v_mul_f64 v[10:11], v[6:7], v[4:5]
	v_fma_f64 v[2:3], -v[2:3], v[10:11], v[6:7]
	s_nop 1
	v_div_fmas_f64 v[2:3], v[2:3], v[4:5], v[10:11]
	v_div_fixup_f64 v[0:1], v[2:3], v[0:1], 1.0
	buffer_load_dword v2, off, s[56:59], 0 offset:192 ; 4-byte Folded Reload
	buffer_load_dword v3, off, s[56:59], 0 offset:196 ; 4-byte Folded Reload
	s_waitcnt vmcnt(0)
	v_add_f64 v[2:3], v[12:13], -v[2:3]
	v_div_scale_f64 v[4:5], s[2:3], v[0:1], v[0:1], v[2:3]
	v_rcp_f64_e32 v[6:7], v[4:5]
	v_fma_f64 v[10:11], -v[4:5], v[6:7], 1.0
	v_fma_f64 v[6:7], v[6:7], v[10:11], v[6:7]
	v_fma_f64 v[10:11], -v[4:5], v[6:7], 1.0
	v_fma_f64 v[6:7], v[6:7], v[10:11], v[6:7]
	v_div_scale_f64 v[10:11], vcc, v[2:3], v[0:1], v[2:3]
	v_mul_f64 v[14:15], v[10:11], v[6:7]
	v_fma_f64 v[4:5], -v[4:5], v[14:15], v[10:11]
	s_nop 1
	v_div_fmas_f64 v[4:5], v[4:5], v[6:7], v[14:15]
	v_div_fixup_f64 v[6:7], v[4:5], v[0:1], v[2:3]
	v_div_scale_f64 v[2:3], s[2:3], v[0:1], v[0:1], -1.0
	s_mov_b32 s2, 0xe2308c3a
	s_mov_b32 s3, 0x3e45798e
	v_rcp_f64_e32 v[4:5], v[2:3]
	v_fma_f64 v[10:11], -v[2:3], v[4:5], 1.0
	v_fma_f64 v[4:5], v[4:5], v[10:11], v[4:5]
	v_fma_f64 v[10:11], -v[2:3], v[4:5], 1.0
	v_fma_f64 v[4:5], v[4:5], v[10:11], v[4:5]
	v_div_scale_f64 v[10:11], vcc, -1.0, v[0:1], -1.0
	v_mul_f64 v[14:15], v[10:11], v[4:5]
	v_fma_f64 v[2:3], -v[2:3], v[14:15], v[10:11]
	s_nop 1
	v_div_fmas_f64 v[2:3], v[2:3], v[4:5], v[14:15]
                                        ; implicit-def: $vgpr4_vgpr5
	v_div_fixup_f64 v[2:3], v[2:3], v[0:1], -1.0
	v_cmp_ngt_f64_e64 s[2:3], |v[2:3]|, s[2:3]
	s_and_saveexec_b64 s[4:5], s[2:3]
	s_xor_b64 s[2:3], exec, s[4:5]
; %bb.24:
	v_mul_f64 v[4:5], s[16:17], v[6:7]
                                        ; implicit-def: $vgpr2_vgpr3
                                        ; implicit-def: $vgpr6_vgpr7
; %bb.25:
	s_andn2_saveexec_b64 s[4:5], s[2:3]
	s_cbranch_execz .LBB0_27
; %bb.26:
	v_mul_f64 v[0:1], s[16:17], v[2:3]
	s_mov_b32 s2, 0x652b82fe
	s_mov_b32 s3, 0x3ff71547
	v_mov_b32_e32 v14, 0xfca7ab0c
	v_mov_b32_e32 v15, 0x3e928af3
	s_mov_b32 s6, 0
	s_mov_b32 s7, 0xc090cc00
	v_mul_f64 v[4:5], v[0:1], s[2:3]
	s_mov_b32 s2, 0xfefa39ef
	s_mov_b32 s3, 0xbfe62e42
	v_rndne_f64_e32 v[4:5], v[4:5]
	v_fma_f64 v[10:11], v[4:5], s[2:3], v[0:1]
	s_mov_b32 s2, 0x3b39803f
	s_mov_b32 s3, 0xbc7abc9e
	v_fma_f64 v[10:11], v[4:5], s[2:3], v[10:11]
	s_mov_b32 s2, 0x6a5dcb37
	s_mov_b32 s3, 0x3e5ade15
	v_cvt_i32_f64_e32 v4, v[4:5]
	v_fma_f64 v[14:15], v[10:11], s[2:3], v[14:15]
	s_mov_b32 s2, 0x623fde64
	s_mov_b32 s3, 0x3ec71dee
	v_fma_f64 v[14:15], v[10:11], v[14:15], s[2:3]
	s_mov_b32 s2, 0x7c89e6b0
	s_mov_b32 s3, 0x3efa0199
	;; [unrolled: 3-line block ×9, first 2 shown]
	v_cmp_nlt_f64_e32 vcc, s[2:3], v[0:1]
	v_cmp_ngt_f64_e64 s[2:3], s[6:7], v[0:1]
	v_fma_f64 v[14:15], v[10:11], v[14:15], 1.0
	v_fma_f64 v[10:11], v[10:11], v[14:15], 1.0
	v_ldexp_f64 v[4:5], v[10:11], v4
	v_mov_b32_e32 v10, 0x7ff00000
	v_mov_b32_e32 v11, 0xbff00000
	v_add_f64 v[4:5], v[4:5], -1.0
	v_cndmask_b32_e32 v5, v10, v5, vcc
	s_and_b64 vcc, s[2:3], vcc
	v_cndmask_b32_e64 v1, v11, v5, s[2:3]
	v_cndmask_b32_e32 v0, 0, v4, vcc
	v_mul_f64 v[0:1], v[6:7], v[0:1]
	v_div_scale_f64 v[4:5], s[2:3], v[2:3], v[2:3], v[0:1]
	v_div_scale_f64 v[14:15], vcc, v[0:1], v[2:3], v[0:1]
	v_rcp_f64_e32 v[6:7], v[4:5]
	v_fma_f64 v[10:11], -v[4:5], v[6:7], 1.0
	v_fma_f64 v[6:7], v[6:7], v[10:11], v[6:7]
	v_fma_f64 v[10:11], -v[4:5], v[6:7], 1.0
	v_fma_f64 v[6:7], v[6:7], v[10:11], v[6:7]
	v_mul_f64 v[10:11], v[14:15], v[6:7]
	v_fma_f64 v[4:5], -v[4:5], v[10:11], v[14:15]
	v_div_fmas_f64 v[4:5], v[4:5], v[6:7], v[10:11]
	v_div_fixup_f64 v[4:5], v[4:5], v[2:3], v[0:1]
.LBB0_27:
	s_or_b64 exec, exec, s[4:5]
	buffer_load_dword v0, off, s[56:59], 0 offset:192 ; 4-byte Folded Reload
	buffer_load_dword v1, off, s[56:59], 0 offset:196 ; 4-byte Folded Reload
	v_mov_b32_e32 v14, 0
	v_mov_b32_e32 v15, 0
	;; [unrolled: 1-line block ×8, first 2 shown]
	s_waitcnt vmcnt(0)
	v_add_f64 v[0:1], v[0:1], v[4:5]
	v_mov_b32_e32 v4, 0x9fbe76c9
	v_mov_b32_e32 v5, 0x3fad2f1a
	global_store_dwordx2 v[22:23], v[0:1], off
	s_and_saveexec_b64 s[2:3], s[0:1]
	s_cbranch_execz .LBB0_29
; %bb.28:
	s_mov_b32 s0, 0xa3d70a4
	s_mov_b32 s1, 0x4042e3d7
	v_add_f64 v[18:19], v[30:31], s[0:1]
	s_mov_b32 s0, 0xcb923a2a
	s_mov_b32 s1, 0x3fcf487f
	v_mul_f64 v[0:1], v[30:31], s[0:1]
	s_mov_b32 s36, 0x652b82fe
	s_mov_b32 s37, 0x3ff71547
	;; [unrolled: 1-line block ×7, first 2 shown]
	v_mul_f64 v[2:3], v[0:1], s[36:37]
	s_mov_b32 s1, 0x3e928af3
	s_mov_b32 s28, 0x6a5dcb37
	v_mov_b32_e32 v15, s1
	s_mov_b32 s29, 0x3e5ade15
	v_mov_b32_e32 v14, s0
	s_mov_b32 s26, 0x623fde64
	s_mov_b32 s27, 0x3ec71dee
	v_rndne_f64_e32 v[2:3], v[2:3]
	s_mov_b32 s24, 0x7c89e6b0
	s_mov_b32 s25, 0x3efa0199
	;; [unrolled: 1-line block ×7, first 2 shown]
	v_fma_f64 v[4:5], v[2:3], s[34:35], v[0:1]
	s_mov_b32 s19, 0x3f811111
	s_mov_b32 s12, 0x555502a1
	;; [unrolled: 1-line block ×7, first 2 shown]
	v_fma_f64 v[4:5], v[2:3], s[30:31], v[4:5]
	v_cvt_i32_f64_e32 v2, v[2:3]
	s_mov_b32 s0, 0
	s_mov_b32 s4, 0
	;; [unrolled: 1-line block ×5, first 2 shown]
	v_cmp_nlt_f64_e32 vcc, s[4:5], v[0:1]
	v_fma_f64 v[6:7], v[4:5], s[28:29], v[14:15]
	s_mov_b32 s7, 0xc090cc00
	v_fma_f64 v[6:7], v[4:5], v[6:7], s[26:27]
	v_fma_f64 v[6:7], v[4:5], v[6:7], s[24:25]
	v_fma_f64 v[6:7], v[4:5], v[6:7], s[22:23]
	v_fma_f64 v[6:7], v[4:5], v[6:7], s[20:21]
	v_fma_f64 v[6:7], v[4:5], v[6:7], s[18:19]
	v_fma_f64 v[6:7], v[4:5], v[6:7], s[12:13]
	v_fma_f64 v[6:7], v[4:5], v[6:7], s[10:11]
	v_fma_f64 v[6:7], v[4:5], v[6:7], s[8:9]
	v_fma_f64 v[6:7], v[4:5], v[6:7], 1.0
	v_fma_f64 v[4:5], v[4:5], v[6:7], 1.0
	v_ldexp_f64 v[2:3], v[4:5], v2
	v_mov_b32_e32 v4, 0xfff00000
	v_mul_f64 v[2:3], v[2:3], s[0:1]
	v_cmp_ngt_f64_e64 s[0:1], s[6:7], v[0:1]
	v_bfrev_b32_e32 v0, 1
	v_cndmask_b32_e32 v3, v4, v3, vcc
	s_and_b64 vcc, s[0:1], vcc
	v_cndmask_b32_e64 v7, v0, v3, s[0:1]
	s_mov_b32 s0, 0x1bef49cf
	s_mov_b32 s1, 0xbfa67b5f
	v_mul_f64 v[0:1], v[30:31], s[0:1]
	v_cndmask_b32_e32 v6, 0, v2, vcc
	s_mov_b32 s0, 0xb28be17e
	s_mov_b32 s1, 0x3edd245b
	v_mul_f64 v[2:3], v[0:1], s[36:37]
	v_cmp_nlt_f64_e32 vcc, s[4:5], v[0:1]
	v_rndne_f64_e32 v[2:3], v[2:3]
	v_fma_f64 v[4:5], v[2:3], s[34:35], v[0:1]
	v_fma_f64 v[4:5], v[2:3], s[30:31], v[4:5]
	v_cvt_i32_f64_e32 v2, v[2:3]
	v_fma_f64 v[10:11], v[4:5], s[28:29], v[14:15]
	v_fma_f64 v[10:11], v[4:5], v[10:11], s[26:27]
	;; [unrolled: 1-line block ×9, first 2 shown]
	v_fma_f64 v[10:11], v[4:5], v[10:11], 1.0
	v_fma_f64 v[4:5], v[4:5], v[10:11], 1.0
	v_ldexp_f64 v[2:3], v[4:5], v2
	v_mov_b32_e32 v4, 0x7ff00000
	v_mul_f64 v[2:3], v[2:3], s[0:1]
	v_cmp_ngt_f64_e64 s[0:1], s[6:7], v[0:1]
	v_cndmask_b32_e32 v3, v4, v3, vcc
	s_and_b64 vcc, s[0:1], vcc
	v_cndmask_b32_e64 v1, 0, v3, s[0:1]
	s_mov_b32 s0, 0x8b439581
	v_cndmask_b32_e32 v0, 0, v2, vcc
	s_mov_b32 s1, 0x3fd3e76c
	v_add_f64 v[0:1], v[6:7], -v[0:1]
	v_mul_f64 v[6:7], v[30:31], s[0:1]
	s_mov_b32 s0, 0x45c3e873
	s_mov_b32 s1, 0x422767c9
	v_mul_f64 v[18:19], v[18:19], v[0:1]
	v_mul_f64 v[0:1], v[6:7], s[36:37]
	v_cmp_nlt_f64_e32 vcc, s[4:5], v[6:7]
	v_rndne_f64_e32 v[2:3], v[0:1]
	v_fma_f64 v[0:1], v[2:3], s[34:35], v[6:7]
	v_fma_f64 v[10:11], v[2:3], s[30:31], v[0:1]
	v_cvt_i32_f64_e32 v2, v[2:3]
	v_fma_f64 v[0:1], v[10:11], s[28:29], v[14:15]
	v_fma_f64 v[0:1], v[10:11], v[0:1], s[26:27]
	;; [unrolled: 1-line block ×9, first 2 shown]
	v_fma_f64 v[0:1], v[10:11], v[0:1], 1.0
	v_fma_f64 v[0:1], v[10:11], v[0:1], 1.0
	v_ldexp_f64 v[0:1], v[0:1], v2
	v_mov_b32_e32 v2, 0x3ff00000
	v_fma_f64 v[0:1], v[0:1], s[0:1], 1.0
	v_cmp_ngt_f64_e64 s[0:1], s[6:7], v[6:7]
	v_cndmask_b32_e32 v1, v4, v1, vcc
	s_and_b64 vcc, s[0:1], vcc
	v_cndmask_b32_e32 v0, 0, v0, vcc
	v_cndmask_b32_e64 v1, v2, v1, s[0:1]
	v_div_scale_f64 v[2:3], s[0:1], v[0:1], v[0:1], v[18:19]
	v_rcp_f64_e32 v[4:5], v[2:3]
	v_fma_f64 v[6:7], -v[2:3], v[4:5], 1.0
	v_fma_f64 v[4:5], v[4:5], v[6:7], v[4:5]
	v_fma_f64 v[6:7], -v[2:3], v[4:5], 1.0
	v_fma_f64 v[4:5], v[4:5], v[6:7], v[4:5]
	v_div_scale_f64 v[6:7], vcc, v[18:19], v[0:1], v[18:19]
	v_mul_f64 v[10:11], v[6:7], v[4:5]
	v_fma_f64 v[2:3], -v[2:3], v[10:11], v[6:7]
	v_mov_b32_e32 v6, 0x2eb1c433
	v_mov_b32_e32 v7, 0xbfc1a36e
	v_div_fmas_f64 v[2:3], v[2:3], v[4:5], v[10:11]
	v_mov_b32_e32 v4, 0x7fa1a0cf
	v_mov_b32_e32 v5, 0xbf858b82
	v_div_fixup_f64 v[14:15], v[2:3], v[0:1], v[18:19]
	v_mov_b32_e32 v2, 0xdd052935
	v_mov_b32_e32 v3, 0x3f98d25e
	;; [unrolled: 1-line block ×4, first 2 shown]
.LBB0_29:
	s_or_b64 exec, exec, s[2:3]
	v_mul_f64 v[0:1], v[30:31], v[4:5]
	s_mov_b32 s34, 0x652b82fe
	s_mov_b32 s35, 0x3ff71547
	;; [unrolled: 1-line block ×7, first 2 shown]
	v_mul_f64 v[4:5], v[0:1], s[34:35]
	s_mov_b32 s1, 0x3e928af3
	s_mov_b32 s26, 0x6a5dcb37
	v_mov_b32_e32 v25, s1
	s_mov_b32 s27, 0x3e5ade15
	v_mov_b32_e32 v24, s0
	s_mov_b32 s24, 0x623fde64
	s_mov_b32 s25, 0x3ec71dee
	v_rndne_f64_e32 v[4:5], v[4:5]
	s_mov_b32 s22, 0x7c89e6b0
	s_mov_b32 s23, 0x3efa0199
	;; [unrolled: 1-line block ×7, first 2 shown]
	v_fma_f64 v[10:11], v[4:5], s[30:31], v[0:1]
	s_mov_b32 s13, 0x3f811111
	s_mov_b32 s10, 0x555502a1
	;; [unrolled: 1-line block ×7, first 2 shown]
	v_fma_f64 v[10:11], v[4:5], s[28:29], v[10:11]
	v_cvt_i32_f64_e32 v4, v[4:5]
	s_mov_b32 s2, 0
	s_mov_b32 s4, 0
	;; [unrolled: 1-line block ×4, first 2 shown]
	v_cmp_nlt_f64_e32 vcc, s[2:3], v[0:1]
	v_cmp_ngt_f64_e64 s[0:1], s[4:5], v[0:1]
	v_fma_f64 v[16:17], v[10:11], s[26:27], v[24:25]
	v_fma_f64 v[16:17], v[10:11], v[16:17], s[24:25]
	;; [unrolled: 1-line block ×9, first 2 shown]
	v_fma_f64 v[16:17], v[10:11], v[16:17], 1.0
	v_fma_f64 v[10:11], v[10:11], v[16:17], 1.0
	v_ldexp_f64 v[4:5], v[10:11], v4
	v_mov_b32_e32 v10, 0x7ff00000
	v_mul_f64 v[2:3], v[4:5], v[2:3]
	v_cndmask_b32_e32 v3, v10, v3, vcc
	s_and_b64 vcc, s[0:1], vcc
	v_cndmask_b32_e32 v22, 0, v2, vcc
	v_cndmask_b32_e64 v23, 0, v3, s[0:1]
	v_mul_f64 v[2:3], v[30:31], v[6:7]
	v_mul_f64 v[0:1], v[2:3], s[34:35]
	v_cmp_nlt_f64_e32 vcc, s[2:3], v[2:3]
	v_cmp_ngt_f64_e64 s[0:1], s[4:5], v[2:3]
	v_rndne_f64_e32 v[4:5], v[0:1]
	v_fma_f64 v[0:1], v[4:5], s[30:31], v[2:3]
	v_mov_b32_e32 v2, 0x3ff00000
	v_fma_f64 v[0:1], v[4:5], s[28:29], v[0:1]
	v_cvt_i32_f64_e32 v4, v[4:5]
	v_fma_f64 v[6:7], v[0:1], s[26:27], v[24:25]
	v_fma_f64 v[6:7], v[0:1], v[6:7], s[24:25]
	;; [unrolled: 1-line block ×9, first 2 shown]
	v_fma_f64 v[6:7], v[0:1], v[6:7], 1.0
	v_fma_f64 v[0:1], v[0:1], v[6:7], 1.0
	v_ldexp_f64 v[0:1], v[0:1], v4
	v_fma_f64 v[0:1], v[0:1], v[18:19], 1.0
	v_cndmask_b32_e32 v1, v10, v1, vcc
	s_and_b64 vcc, s[0:1], vcc
	v_cndmask_b32_e32 v0, 0, v0, vcc
	v_cndmask_b32_e64 v1, v2, v1, s[0:1]
	v_div_scale_f64 v[2:3], s[0:1], v[0:1], v[0:1], v[22:23]
	v_rcp_f64_e32 v[4:5], v[2:3]
	v_fma_f64 v[6:7], -v[2:3], v[4:5], 1.0
	v_fma_f64 v[4:5], v[4:5], v[6:7], v[4:5]
	v_fma_f64 v[6:7], -v[2:3], v[4:5], 1.0
	v_fma_f64 v[4:5], v[4:5], v[6:7], v[4:5]
	v_div_scale_f64 v[6:7], vcc, v[22:23], v[0:1], v[22:23]
	v_mul_f64 v[10:11], v[6:7], v[4:5]
	v_fma_f64 v[2:3], -v[2:3], v[10:11], v[6:7]
	s_nop 1
	v_div_fmas_f64 v[2:3], v[2:3], v[4:5], v[10:11]
	v_div_fixup_f64 v[0:1], v[2:3], v[0:1], v[22:23]
	v_add_f64 v[0:1], v[14:15], v[0:1]
	v_div_scale_f64 v[2:3], s[0:1], v[0:1], v[0:1], 1.0
	v_rcp_f64_e32 v[4:5], v[2:3]
	v_fma_f64 v[6:7], -v[2:3], v[4:5], 1.0
	v_fma_f64 v[4:5], v[4:5], v[6:7], v[4:5]
	v_fma_f64 v[6:7], -v[2:3], v[4:5], 1.0
	v_fma_f64 v[4:5], v[4:5], v[6:7], v[4:5]
	v_div_scale_f64 v[6:7], vcc, 1.0, v[0:1], 1.0
	v_mul_f64 v[10:11], v[6:7], v[4:5]
	v_fma_f64 v[2:3], -v[2:3], v[10:11], v[6:7]
	s_nop 1
	v_div_fmas_f64 v[2:3], v[2:3], v[4:5], v[10:11]
	v_div_fixup_f64 v[0:1], v[2:3], v[0:1], 1.0
	buffer_load_dword v2, off, s[56:59], 0 offset:48 ; 4-byte Folded Reload
	buffer_load_dword v3, off, s[56:59], 0 offset:52 ; 4-byte Folded Reload
	s_waitcnt vmcnt(0)
	v_add_f64 v[2:3], v[12:13], -v[2:3]
	v_div_scale_f64 v[4:5], s[0:1], v[0:1], v[0:1], v[2:3]
	v_rcp_f64_e32 v[6:7], v[4:5]
	v_fma_f64 v[10:11], -v[4:5], v[6:7], 1.0
	v_fma_f64 v[6:7], v[6:7], v[10:11], v[6:7]
	v_fma_f64 v[10:11], -v[4:5], v[6:7], 1.0
	v_fma_f64 v[6:7], v[6:7], v[10:11], v[6:7]
	v_div_scale_f64 v[10:11], vcc, v[2:3], v[0:1], v[2:3]
	v_mul_f64 v[12:13], v[10:11], v[6:7]
	v_fma_f64 v[4:5], -v[4:5], v[12:13], v[10:11]
	s_nop 1
	v_div_fmas_f64 v[4:5], v[4:5], v[6:7], v[12:13]
	v_div_fixup_f64 v[6:7], v[4:5], v[0:1], v[2:3]
	v_div_scale_f64 v[2:3], s[0:1], v[0:1], v[0:1], -1.0
	s_mov_b32 s0, 0xe2308c3a
	s_mov_b32 s1, 0x3e45798e
	v_rcp_f64_e32 v[4:5], v[2:3]
	v_fma_f64 v[10:11], -v[2:3], v[4:5], 1.0
	v_fma_f64 v[4:5], v[4:5], v[10:11], v[4:5]
	v_fma_f64 v[10:11], -v[2:3], v[4:5], 1.0
	v_fma_f64 v[4:5], v[4:5], v[10:11], v[4:5]
	v_div_scale_f64 v[10:11], vcc, -1.0, v[0:1], -1.0
	v_mul_f64 v[12:13], v[10:11], v[4:5]
	v_fma_f64 v[2:3], -v[2:3], v[12:13], v[10:11]
	s_nop 1
	v_div_fmas_f64 v[2:3], v[2:3], v[4:5], v[12:13]
                                        ; implicit-def: $vgpr4_vgpr5
	v_div_fixup_f64 v[2:3], v[2:3], v[0:1], -1.0
	v_cmp_ngt_f64_e64 s[0:1], |v[2:3]|, s[0:1]
	s_and_saveexec_b64 s[2:3], s[0:1]
	s_xor_b64 s[0:1], exec, s[2:3]
; %bb.30:
	v_mul_f64 v[4:5], s[16:17], v[6:7]
                                        ; implicit-def: $vgpr2_vgpr3
                                        ; implicit-def: $vgpr6_vgpr7
; %bb.31:
	s_andn2_saveexec_b64 s[2:3], s[0:1]
	s_cbranch_execz .LBB0_33
; %bb.32:
	v_mul_f64 v[0:1], s[16:17], v[2:3]
	s_mov_b32 s0, 0x652b82fe
	s_mov_b32 s1, 0x3ff71547
	v_mov_b32_e32 v12, 0xfca7ab0c
	v_mov_b32_e32 v13, 0x3e928af3
	v_mul_f64 v[4:5], v[0:1], s[0:1]
	s_mov_b32 s0, 0xfefa39ef
	s_mov_b32 s1, 0xbfe62e42
	v_rndne_f64_e32 v[4:5], v[4:5]
	v_fma_f64 v[10:11], v[4:5], s[0:1], v[0:1]
	s_mov_b32 s0, 0x3b39803f
	s_mov_b32 s1, 0xbc7abc9e
	v_fma_f64 v[10:11], v[4:5], s[0:1], v[10:11]
	s_mov_b32 s0, 0x6a5dcb37
	s_mov_b32 s1, 0x3e5ade15
	v_cvt_i32_f64_e32 v4, v[4:5]
	v_fma_f64 v[12:13], v[10:11], s[0:1], v[12:13]
	s_mov_b32 s0, 0x623fde64
	s_mov_b32 s1, 0x3ec71dee
	v_fma_f64 v[12:13], v[10:11], v[12:13], s[0:1]
	s_mov_b32 s0, 0x7c89e6b0
	s_mov_b32 s1, 0x3efa0199
	;; [unrolled: 3-line block ×9, first 2 shown]
	v_cmp_nlt_f64_e32 vcc, s[0:1], v[0:1]
	v_cmp_ngt_f64_e64 s[0:1], s[4:5], v[0:1]
	v_fma_f64 v[12:13], v[10:11], v[12:13], 1.0
	v_fma_f64 v[10:11], v[10:11], v[12:13], 1.0
	v_ldexp_f64 v[4:5], v[10:11], v4
	v_mov_b32_e32 v10, 0x7ff00000
	v_mov_b32_e32 v11, 0xbff00000
	v_add_f64 v[4:5], v[4:5], -1.0
	v_cndmask_b32_e32 v5, v10, v5, vcc
	s_and_b64 vcc, s[0:1], vcc
	v_cndmask_b32_e64 v1, v11, v5, s[0:1]
	v_cndmask_b32_e32 v0, 0, v4, vcc
	v_mul_f64 v[0:1], v[6:7], v[0:1]
	v_div_scale_f64 v[4:5], s[0:1], v[2:3], v[2:3], v[0:1]
	v_div_scale_f64 v[12:13], vcc, v[0:1], v[2:3], v[0:1]
	v_rcp_f64_e32 v[6:7], v[4:5]
	v_fma_f64 v[10:11], -v[4:5], v[6:7], 1.0
	v_fma_f64 v[6:7], v[6:7], v[10:11], v[6:7]
	v_fma_f64 v[10:11], -v[4:5], v[6:7], 1.0
	v_fma_f64 v[6:7], v[6:7], v[10:11], v[6:7]
	v_mul_f64 v[10:11], v[12:13], v[6:7]
	v_fma_f64 v[4:5], -v[4:5], v[10:11], v[12:13]
	v_div_fmas_f64 v[4:5], v[4:5], v[6:7], v[10:11]
	v_div_fixup_f64 v[4:5], v[4:5], v[2:3], v[0:1]
.LBB0_33:
	s_or_b64 exec, exec, s[2:3]
	buffer_load_dword v0, off, s[56:59], 0 offset:48 ; 4-byte Folded Reload
	buffer_load_dword v1, off, s[56:59], 0 offset:52 ; 4-byte Folded Reload
	s_mov_b32 s0, 0x11111105
	s_mov_b32 s1, 0xbfc11111
	;; [unrolled: 1-line block ×22, first 2 shown]
	s_waitcnt vmcnt(0)
	v_add_f64 v[0:1], v[0:1], v[4:5]
	global_store_dwordx2 v[54:55], v[0:1], off
	v_mul_f64 v[0:1], v[30:31], s[0:1]
	s_mov_b32 s0, 0xfca7ab0c
	s_mov_b32 s1, 0x3e928af3
	v_mov_b32_e32 v17, s1
	v_mov_b32_e32 v16, s0
	s_mov_b32 s0, 0x9ad86a7a
	s_mov_b32 s1, 0x3fd6069d
	v_mul_f64 v[2:3], v[0:1], s[34:35]
	v_rndne_f64_e32 v[2:3], v[2:3]
	v_fma_f64 v[4:5], v[2:3], s[22:23], v[0:1]
	v_fma_f64 v[4:5], v[2:3], s[12:13], v[4:5]
	v_cvt_i32_f64_e32 v2, v[2:3]
	v_fma_f64 v[6:7], v[4:5], s[18:19], v[16:17]
	v_fma_f64 v[6:7], v[4:5], v[6:7], s[30:31]
	;; [unrolled: 1-line block ×9, first 2 shown]
	v_fma_f64 v[6:7], v[4:5], v[6:7], 1.0
	v_fma_f64 v[4:5], v[4:5], v[6:7], 1.0
	v_ldexp_f64 v[2:3], v[4:5], v2
	v_fma_f64 v[2:3], v[2:3], s[0:1], 1.0
	v_div_scale_f64 v[4:5], s[0:1], v[2:3], v[2:3], 1.0
	v_cmp_ngt_f64_e64 s[0:1], s[2:3], v[0:1]
	v_rcp_f64_e32 v[6:7], v[4:5]
	v_fma_f64 v[10:11], -v[4:5], v[6:7], 1.0
	v_fma_f64 v[6:7], v[6:7], v[10:11], v[6:7]
	v_fma_f64 v[10:11], -v[4:5], v[6:7], 1.0
	v_fma_f64 v[6:7], v[6:7], v[10:11], v[6:7]
	v_div_scale_f64 v[10:11], vcc, 1.0, v[2:3], 1.0
	v_mul_f64 v[12:13], v[10:11], v[6:7]
	v_fma_f64 v[4:5], -v[4:5], v[12:13], v[10:11]
	s_nop 1
	v_div_fmas_f64 v[4:5], v[4:5], v[6:7], v[12:13]
	v_cmp_nlt_f64_e32 vcc, s[4:5], v[0:1]
	v_div_fixup_f64 v[2:3], v[4:5], v[2:3], 1.0
	v_cndmask_b32_e32 v3, 0, v3, vcc
	s_and_b64 vcc, s[0:1], vcc
	v_cndmask_b32_e32 v12, 0, v2, vcc
	v_mov_b32_e32 v2, 0x3ff00000
	v_cndmask_b32_e64 v13, v2, v3, s[0:1]
	s_mov_b32 s0, 0
	s_mov_b32 s1, 0xc02a0000
	v_div_scale_f64 v[0:1], s[36:37], s[0:1], s[0:1], v[30:31]
	v_rcp_f64_e32 v[3:4], v[0:1]
	v_fma_f64 v[5:6], -v[0:1], v[3:4], 1.0
	v_fma_f64 v[3:4], v[3:4], v[5:6], v[3:4]
	v_fma_f64 v[5:6], -v[0:1], v[3:4], 1.0
	v_fma_f64 v[3:4], v[3:4], v[5:6], v[3:4]
	v_div_scale_f64 v[5:6], vcc, v[30:31], s[0:1], v[30:31]
	v_mul_f64 v[10:11], v[5:6], v[3:4]
	v_fma_f64 v[0:1], -v[0:1], v[10:11], v[5:6]
	s_nop 1
	v_div_fmas_f64 v[0:1], v[0:1], v[3:4], v[10:11]
	v_div_fixup_f64 v[0:1], v[0:1], s[0:1], v[30:31]
	s_mov_b32 s0, 0x9d89d89e
	s_mov_b32 s1, 0xc00589d8
	v_add_f64 v[0:1], v[0:1], s[0:1]
	s_mov_b32 s0, 0x66666666
	s_mov_b32 s1, 0x3ff66666
	v_mul_f64 v[3:4], v[0:1], s[34:35]
	v_rndne_f64_e32 v[3:4], v[3:4]
	v_fma_f64 v[5:6], v[3:4], s[22:23], v[0:1]
	v_fma_f64 v[5:6], v[3:4], s[12:13], v[5:6]
	v_cvt_i32_f64_e32 v3, v[3:4]
	v_fma_f64 v[10:11], v[5:6], s[18:19], v[16:17]
	v_fma_f64 v[10:11], v[5:6], v[10:11], s[30:31]
	;; [unrolled: 1-line block ×9, first 2 shown]
	v_fma_f64 v[10:11], v[5:6], v[10:11], 1.0
	v_fma_f64 v[5:6], v[5:6], v[10:11], 1.0
	v_ldexp_f64 v[3:4], v[5:6], v3
	v_add_f64 v[3:4], v[3:4], 1.0
	v_div_scale_f64 v[5:6], s[36:37], v[3:4], v[3:4], s[0:1]
	s_mov_b32 s36, 0
	s_mov_b32 s37, 0x3fd00000
	v_rcp_f64_e32 v[10:11], v[5:6]
	v_fma_f64 v[14:15], -v[5:6], v[10:11], 1.0
	v_fma_f64 v[10:11], v[10:11], v[14:15], v[10:11]
	v_fma_f64 v[14:15], -v[5:6], v[10:11], 1.0
	v_fma_f64 v[10:11], v[10:11], v[14:15], v[10:11]
	v_div_scale_f64 v[14:15], vcc, s[0:1], v[3:4], s[0:1]
	v_mul_f64 v[18:19], v[14:15], v[10:11]
	v_fma_f64 v[5:6], -v[5:6], v[18:19], v[14:15]
	s_nop 1
	v_div_fmas_f64 v[5:6], v[5:6], v[10:11], v[18:19]
	v_cmp_nlt_f64_e32 vcc, s[4:5], v[0:1]
	v_div_fixup_f64 v[3:4], v[5:6], v[3:4], s[0:1]
	v_add_f64 v[3:4], v[3:4], s[36:37]
	v_cndmask_b32_e32 v5, 0, v3, vcc
	v_mov_b32_e32 v3, 0x3fd00000
	v_cndmask_b32_e32 v3, v3, v4, vcc
	v_cmp_ngt_f64_e32 vcc, s[2:3], v[0:1]
	v_mov_b32_e32 v0, 0x3ffa6666
	v_cndmask_b32_e32 v15, v0, v3, vcc
	v_add_f64 v[0:1], v[8:9], 1.0
	v_mov_b32_e32 v3, 0x66666666
	v_cndmask_b32_e32 v14, v3, v5, vcc
	v_mul_f64 v[4:5], v[0:1], s[34:35]
	v_rndne_f64_e32 v[4:5], v[4:5]
	v_fma_f64 v[6:7], v[4:5], s[22:23], v[0:1]
	v_fma_f64 v[6:7], v[4:5], s[12:13], v[6:7]
	v_cvt_i32_f64_e32 v4, v[4:5]
	v_fma_f64 v[10:11], v[6:7], s[18:19], v[16:17]
	v_fma_f64 v[10:11], v[6:7], v[10:11], s[30:31]
	;; [unrolled: 1-line block ×9, first 2 shown]
	v_fma_f64 v[10:11], v[6:7], v[10:11], 1.0
	v_fma_f64 v[6:7], v[6:7], v[10:11], 1.0
	v_ldexp_f64 v[4:5], v[6:7], v4
	v_add_f64 v[4:5], v[4:5], 1.0
	v_div_scale_f64 v[6:7], s[36:37], v[4:5], v[4:5], s[0:1]
	v_rcp_f64_e32 v[10:11], v[6:7]
	v_fma_f64 v[18:19], -v[6:7], v[10:11], 1.0
	v_fma_f64 v[10:11], v[10:11], v[18:19], v[10:11]
	v_fma_f64 v[18:19], -v[6:7], v[10:11], 1.0
	v_fma_f64 v[10:11], v[10:11], v[18:19], v[10:11]
	v_div_scale_f64 v[18:19], vcc, s[0:1], v[4:5], s[0:1]
	v_mul_f64 v[20:21], v[18:19], v[10:11]
	v_fma_f64 v[6:7], -v[6:7], v[20:21], v[18:19]
	s_nop 1
	v_div_fmas_f64 v[6:7], v[6:7], v[10:11], v[20:21]
	v_cmp_nlt_f64_e32 vcc, s[4:5], v[0:1]
	v_div_fixup_f64 v[4:5], v[6:7], v[4:5], s[0:1]
	s_mov_b32 s0, 0
	s_mov_b32 s1, 0x40040000
	v_add_f64 v[6:7], -v[38:39], s[0:1]
	v_cndmask_b32_e32 v4, 0, v4, vcc
	v_cndmask_b32_e32 v5, 0, v5, vcc
	v_cmp_ngt_f64_e32 vcc, s[2:3], v[0:1]
	v_mov_b32_e32 v0, 0x3ff66666
	v_cndmask_b32_e32 v19, v0, v5, vcc
	v_mul_f64 v[0:1], v[6:7], s[34:35]
	v_cndmask_b32_e32 v18, v3, v4, vcc
	v_rndne_f64_e32 v[0:1], v[0:1]
	v_fma_f64 v[3:4], v[0:1], s[22:23], v[6:7]
	v_fma_f64 v[3:4], v[0:1], s[12:13], v[3:4]
	v_cvt_i32_f64_e32 v0, v[0:1]
	v_fma_f64 v[10:11], v[3:4], s[18:19], v[16:17]
	v_fma_f64 v[10:11], v[3:4], v[10:11], s[30:31]
	;; [unrolled: 1-line block ×9, first 2 shown]
	v_fma_f64 v[10:11], v[3:4], v[10:11], 1.0
	v_fma_f64 v[3:4], v[3:4], v[10:11], 1.0
	v_ldexp_f64 v[0:1], v[3:4], v0
	v_add_f64 v[0:1], v[0:1], 1.0
	v_div_scale_f64 v[3:4], s[0:1], v[0:1], v[0:1], 1.0
	v_cmp_ngt_f64_e64 s[0:1], s[2:3], v[6:7]
	v_rcp_f64_e32 v[10:11], v[3:4]
	v_fma_f64 v[16:17], -v[3:4], v[10:11], 1.0
	v_fma_f64 v[10:11], v[10:11], v[16:17], v[10:11]
	v_fma_f64 v[16:17], -v[3:4], v[10:11], 1.0
	v_fma_f64 v[10:11], v[10:11], v[16:17], v[10:11]
	v_div_scale_f64 v[16:17], vcc, 1.0, v[0:1], 1.0
	v_mul_f64 v[20:21], v[16:17], v[10:11]
	v_fma_f64 v[3:4], -v[3:4], v[20:21], v[16:17]
	s_nop 1
	v_div_fmas_f64 v[3:4], v[3:4], v[10:11], v[20:21]
	v_cmp_nlt_f64_e32 vcc, s[4:5], v[6:7]
	v_div_fixup_f64 v[0:1], v[3:4], v[0:1], 1.0
	v_cndmask_b32_e32 v1, 0, v1, vcc
	s_and_b64 vcc, s[0:1], vcc
	v_cndmask_b32_e32 v0, 0, v0, vcc
	v_cndmask_b32_e64 v1, v2, v1, s[0:1]
	v_fma_f64 v[2:3], v[18:19], v[14:15], v[0:1]
	buffer_load_dword v0, off, s[56:59], 0 offset:88 ; 4-byte Folded Reload
	buffer_load_dword v1, off, s[56:59], 0 offset:92 ; 4-byte Folded Reload
	s_waitcnt vmcnt(0)
	v_add_f64 v[0:1], v[12:13], -v[0:1]
	v_div_scale_f64 v[4:5], s[0:1], v[2:3], v[2:3], v[0:1]
	v_rcp_f64_e32 v[6:7], v[4:5]
	v_fma_f64 v[10:11], -v[4:5], v[6:7], 1.0
	v_fma_f64 v[6:7], v[6:7], v[10:11], v[6:7]
	v_fma_f64 v[10:11], -v[4:5], v[6:7], 1.0
	v_fma_f64 v[6:7], v[6:7], v[10:11], v[6:7]
	v_div_scale_f64 v[10:11], vcc, v[0:1], v[2:3], v[0:1]
	v_mul_f64 v[12:13], v[10:11], v[6:7]
	v_fma_f64 v[4:5], -v[4:5], v[12:13], v[10:11]
	s_nop 1
	v_div_fmas_f64 v[4:5], v[4:5], v[6:7], v[12:13]
	v_div_fixup_f64 v[6:7], v[4:5], v[2:3], v[0:1]
	v_div_scale_f64 v[0:1], s[0:1], v[2:3], v[2:3], -1.0
	s_mov_b32 s0, 0xe2308c3a
	s_mov_b32 s1, 0x3e45798e
	v_rcp_f64_e32 v[4:5], v[0:1]
	v_fma_f64 v[10:11], -v[0:1], v[4:5], 1.0
	v_fma_f64 v[4:5], v[4:5], v[10:11], v[4:5]
	v_fma_f64 v[10:11], -v[0:1], v[4:5], 1.0
	v_fma_f64 v[4:5], v[4:5], v[10:11], v[4:5]
	v_div_scale_f64 v[10:11], vcc, -1.0, v[2:3], -1.0
	v_mul_f64 v[12:13], v[10:11], v[4:5]
	v_fma_f64 v[0:1], -v[0:1], v[12:13], v[10:11]
	s_nop 1
	v_div_fmas_f64 v[0:1], v[0:1], v[4:5], v[12:13]
                                        ; implicit-def: $vgpr4_vgpr5
	v_div_fixup_f64 v[2:3], v[0:1], v[2:3], -1.0
	v_cmp_ngt_f64_e64 s[0:1], |v[2:3]|, s[0:1]
	s_and_saveexec_b64 s[2:3], s[0:1]
	s_xor_b64 s[0:1], exec, s[2:3]
; %bb.34:
	v_mul_f64 v[4:5], s[16:17], v[6:7]
                                        ; implicit-def: $vgpr2_vgpr3
                                        ; implicit-def: $vgpr6_vgpr7
; %bb.35:
	s_andn2_saveexec_b64 s[2:3], s[0:1]
	s_cbranch_execz .LBB0_37
; %bb.36:
	v_mul_f64 v[0:1], s[16:17], v[2:3]
	s_mov_b32 s0, 0x652b82fe
	s_mov_b32 s1, 0x3ff71547
	v_mov_b32_e32 v12, 0xfca7ab0c
	v_mov_b32_e32 v13, 0x3e928af3
	s_mov_b32 s4, 0
	s_mov_b32 s5, 0xc090cc00
	v_mul_f64 v[4:5], v[0:1], s[0:1]
	s_mov_b32 s0, 0xfefa39ef
	s_mov_b32 s1, 0xbfe62e42
	v_rndne_f64_e32 v[4:5], v[4:5]
	v_fma_f64 v[10:11], v[4:5], s[0:1], v[0:1]
	s_mov_b32 s0, 0x3b39803f
	s_mov_b32 s1, 0xbc7abc9e
	v_fma_f64 v[10:11], v[4:5], s[0:1], v[10:11]
	s_mov_b32 s0, 0x6a5dcb37
	s_mov_b32 s1, 0x3e5ade15
	v_cvt_i32_f64_e32 v4, v[4:5]
	v_fma_f64 v[12:13], v[10:11], s[0:1], v[12:13]
	s_mov_b32 s0, 0x623fde64
	s_mov_b32 s1, 0x3ec71dee
	v_fma_f64 v[12:13], v[10:11], v[12:13], s[0:1]
	s_mov_b32 s0, 0x7c89e6b0
	s_mov_b32 s1, 0x3efa0199
	;; [unrolled: 3-line block ×9, first 2 shown]
	v_cmp_nlt_f64_e32 vcc, s[0:1], v[0:1]
	v_cmp_ngt_f64_e64 s[0:1], s[4:5], v[0:1]
	v_fma_f64 v[12:13], v[10:11], v[12:13], 1.0
	v_fma_f64 v[10:11], v[10:11], v[12:13], 1.0
	v_ldexp_f64 v[4:5], v[10:11], v4
	v_mov_b32_e32 v10, 0x7ff00000
	v_mov_b32_e32 v11, 0xbff00000
	v_add_f64 v[4:5], v[4:5], -1.0
	v_cndmask_b32_e32 v5, v10, v5, vcc
	s_and_b64 vcc, s[0:1], vcc
	v_cndmask_b32_e64 v1, v11, v5, s[0:1]
	v_cndmask_b32_e32 v0, 0, v4, vcc
	v_mul_f64 v[0:1], v[6:7], v[0:1]
	v_div_scale_f64 v[4:5], s[0:1], v[2:3], v[2:3], v[0:1]
	v_div_scale_f64 v[12:13], vcc, v[0:1], v[2:3], v[0:1]
	v_rcp_f64_e32 v[6:7], v[4:5]
	v_fma_f64 v[10:11], -v[4:5], v[6:7], 1.0
	v_fma_f64 v[6:7], v[6:7], v[10:11], v[6:7]
	v_fma_f64 v[10:11], -v[4:5], v[6:7], 1.0
	v_fma_f64 v[6:7], v[6:7], v[10:11], v[6:7]
	v_mul_f64 v[10:11], v[12:13], v[6:7]
	v_fma_f64 v[4:5], -v[4:5], v[10:11], v[12:13]
	v_div_fmas_f64 v[4:5], v[4:5], v[6:7], v[10:11]
	v_div_fixup_f64 v[4:5], v[4:5], v[2:3], v[0:1]
.LBB0_37:
	s_or_b64 exec, exec, s[2:3]
	buffer_load_dword v0, off, s[56:59], 0 offset:88 ; 4-byte Folded Reload
	buffer_load_dword v1, off, s[56:59], 0 offset:92 ; 4-byte Folded Reload
	s_mov_b32 s0, 0xb6db6db7
	s_mov_b32 s1, 0x4006db6d
	;; [unrolled: 1-line block ×28, first 2 shown]
	v_mov_b32_e32 v18, 0x7ff00000
	s_waitcnt vmcnt(0)
	v_add_f64 v[0:1], v[0:1], v[4:5]
	global_store_dwordx2 v[60:61], v[0:1], off
	v_add_f64 v[0:1], v[56:57], s[0:1]
	s_mov_b32 s0, 0xfca7ab0c
	s_mov_b32 s1, 0x3e928af3
	v_mov_b32_e32 v17, s1
	v_mov_b32_e32 v16, s0
	v_mul_f64 v[2:3], v[0:1], s[2:3]
	v_rndne_f64_e32 v[2:3], v[2:3]
	v_fma_f64 v[4:5], v[2:3], s[4:5], v[0:1]
	v_fma_f64 v[4:5], v[2:3], s[6:7], v[4:5]
	v_cvt_i32_f64_e32 v2, v[2:3]
	v_fma_f64 v[6:7], v[4:5], s[12:13], v[16:17]
	v_fma_f64 v[6:7], v[4:5], v[6:7], s[18:19]
	v_fma_f64 v[6:7], v[4:5], v[6:7], s[20:21]
	v_fma_f64 v[6:7], v[4:5], v[6:7], s[22:23]
	v_fma_f64 v[6:7], v[4:5], v[6:7], s[24:25]
	v_fma_f64 v[6:7], v[4:5], v[6:7], s[26:27]
	v_fma_f64 v[6:7], v[4:5], v[6:7], s[28:29]
	v_fma_f64 v[6:7], v[4:5], v[6:7], s[30:31]
	v_fma_f64 v[6:7], v[4:5], v[6:7], s[34:35]
	v_fma_f64 v[6:7], v[4:5], v[6:7], 1.0
	v_fma_f64 v[4:5], v[4:5], v[6:7], 1.0
	v_ldexp_f64 v[2:3], v[4:5], v2
	v_add_f64 v[2:3], v[2:3], 1.0
	v_div_scale_f64 v[4:5], s[0:1], v[2:3], v[2:3], 1.0
	v_cmp_ngt_f64_e64 s[0:1], s[10:11], v[0:1]
	v_rcp_f64_e32 v[6:7], v[4:5]
	v_fma_f64 v[10:11], -v[4:5], v[6:7], 1.0
	v_fma_f64 v[6:7], v[6:7], v[10:11], v[6:7]
	v_fma_f64 v[10:11], -v[4:5], v[6:7], 1.0
	v_fma_f64 v[6:7], v[6:7], v[10:11], v[6:7]
	v_div_scale_f64 v[10:11], vcc, 1.0, v[2:3], 1.0
	v_mul_f64 v[12:13], v[10:11], v[6:7]
	v_fma_f64 v[4:5], -v[4:5], v[12:13], v[10:11]
	s_nop 1
	v_div_fmas_f64 v[4:5], v[4:5], v[6:7], v[12:13]
	v_cmp_nlt_f64_e32 vcc, s[8:9], v[0:1]
	v_div_fixup_f64 v[2:3], v[4:5], v[2:3], 1.0
	v_cndmask_b32_e32 v3, 0, v3, vcc
	s_and_b64 vcc, s[0:1], vcc
	v_cndmask_b32_e32 v14, 0, v2, vcc
	v_mov_b32_e32 v2, 0x3ff00000
	v_cndmask_b32_e64 v15, v2, v3, s[0:1]
	s_mov_b32 s0, 0
	s_mov_b32 s1, 0x40080000
	v_add_f64 v[0:1], v[48:49], s[0:1]
	v_mul_f64 v[3:4], v[0:1], s[2:3]
	v_cmp_nlt_f64_e32 vcc, s[8:9], v[0:1]
	v_cmp_ngt_f64_e64 s[0:1], s[10:11], v[0:1]
	v_rndne_f64_e32 v[3:4], v[3:4]
	v_fma_f64 v[5:6], v[3:4], s[4:5], v[0:1]
	v_fma_f64 v[5:6], v[3:4], s[6:7], v[5:6]
	v_cvt_i32_f64_e32 v3, v[3:4]
	v_fma_f64 v[10:11], v[5:6], s[12:13], v[16:17]
	v_fma_f64 v[10:11], v[5:6], v[10:11], s[18:19]
	;; [unrolled: 1-line block ×9, first 2 shown]
	v_fma_f64 v[10:11], v[5:6], v[10:11], 1.0
	v_fma_f64 v[5:6], v[5:6], v[10:11], 1.0
	v_ldexp_f64 v[3:4], v[5:6], v3
	v_add_f64 v[3:4], v[3:4], 1.0
	v_cndmask_b32_e32 v4, v18, v4, vcc
	s_and_b64 vcc, s[0:1], vcc
	v_cndmask_b32_e64 v11, v2, v4, s[0:1]
	s_mov_b32 s0, 0
	v_cndmask_b32_e32 v10, 0, v3, vcc
	s_mov_b32 s1, 0x40668000
	v_div_scale_f64 v[0:1], s[36:37], v[10:11], v[10:11], s[0:1]
	v_rcp_f64_e32 v[2:3], v[0:1]
	v_fma_f64 v[4:5], -v[0:1], v[2:3], 1.0
	v_fma_f64 v[2:3], v[2:3], v[4:5], v[2:3]
	v_fma_f64 v[4:5], -v[0:1], v[2:3], 1.0
	v_fma_f64 v[2:3], v[2:3], v[4:5], v[2:3]
	v_div_scale_f64 v[4:5], vcc, s[0:1], v[10:11], s[0:1]
	v_mul_f64 v[6:7], v[4:5], v[2:3]
	v_fma_f64 v[0:1], -v[0:1], v[6:7], v[4:5]
	s_nop 1
	v_div_fmas_f64 v[0:1], v[0:1], v[2:3], v[6:7]
	v_div_fixup_f64 v[0:1], v[0:1], v[10:11], s[0:1]
	s_mov_b32 s0, 0
	s_mov_b32 s1, 0x40340000
	v_add_f64 v[12:13], v[0:1], s[0:1]
	s_mov_b32 s0, 0xcccccccd
	s_mov_b32 s1, 0x3ff4cccc
	v_add_f64 v[6:7], -v[48:49], s[0:1]
	s_mov_b32 s0, 0
	s_mov_b32 s1, 0x40690000
	v_mul_f64 v[0:1], v[6:7], s[2:3]
	v_rndne_f64_e32 v[2:3], v[0:1]
	v_fma_f64 v[0:1], v[2:3], s[4:5], v[6:7]
	v_fma_f64 v[4:5], v[2:3], s[6:7], v[0:1]
	v_cvt_i32_f64_e32 v2, v[2:3]
	v_fma_f64 v[0:1], v[4:5], s[12:13], v[16:17]
	v_fma_f64 v[0:1], v[4:5], v[0:1], s[18:19]
	;; [unrolled: 1-line block ×9, first 2 shown]
	v_fma_f64 v[0:1], v[4:5], v[0:1], 1.0
	v_fma_f64 v[0:1], v[4:5], v[0:1], 1.0
	v_ldexp_f64 v[0:1], v[0:1], v2
	v_add_f64 v[0:1], v[0:1], 1.0
	v_div_scale_f64 v[2:3], s[36:37], v[0:1], v[0:1], s[0:1]
	v_rcp_f64_e32 v[4:5], v[2:3]
	v_fma_f64 v[19:20], -v[2:3], v[4:5], 1.0
	v_fma_f64 v[4:5], v[4:5], v[19:20], v[4:5]
	v_fma_f64 v[19:20], -v[2:3], v[4:5], 1.0
	v_fma_f64 v[4:5], v[4:5], v[19:20], v[4:5]
	v_div_scale_f64 v[19:20], vcc, s[0:1], v[0:1], s[0:1]
	v_mul_f64 v[21:22], v[19:20], v[4:5]
	v_fma_f64 v[2:3], -v[2:3], v[21:22], v[19:20]
	s_nop 1
	v_div_fmas_f64 v[2:3], v[2:3], v[4:5], v[21:22]
	v_cmp_nlt_f64_e32 vcc, s[8:9], v[6:7]
	v_div_fixup_f64 v[0:1], v[2:3], v[0:1], s[0:1]
	v_cmp_ngt_f64_e64 s[0:1], s[10:11], v[6:7]
	v_mov_b32_e32 v2, 0x40690000
	v_cndmask_b32_e32 v1, 0, v1, vcc
	s_and_b64 vcc, s[0:1], vcc
	v_cndmask_b32_e64 v1, v2, v1, s[0:1]
	s_mov_b32 s0, 0
	v_cndmask_b32_e32 v0, 0, v0, vcc
	s_mov_b32 s1, 0x403b0000
	v_add_f64 v[6:7], v[0:1], v[12:13]
	v_add_f64 v[0:1], v[30:31], s[0:1]
	s_mov_b32 s0, 0
	s_mov_b32 s1, 0x406c2000
	v_mul_f64 v[12:13], v[0:1], -v[0:1]
	v_div_scale_f64 v[0:1], s[36:37], s[0:1], s[0:1], v[12:13]
	v_rcp_f64_e32 v[2:3], v[0:1]
	v_fma_f64 v[4:5], -v[0:1], v[2:3], 1.0
	v_fma_f64 v[2:3], v[2:3], v[4:5], v[2:3]
	v_fma_f64 v[4:5], -v[0:1], v[2:3], 1.0
	v_fma_f64 v[2:3], v[2:3], v[4:5], v[2:3]
	v_div_scale_f64 v[4:5], vcc, v[12:13], s[0:1], v[12:13]
	v_mul_f64 v[19:20], v[4:5], v[2:3]
	v_fma_f64 v[0:1], -v[0:1], v[19:20], v[4:5]
	s_nop 1
	v_div_fmas_f64 v[0:1], v[0:1], v[2:3], v[19:20]
	v_div_fixup_f64 v[0:1], v[0:1], s[0:1], v[12:13]
	s_mov_b32 s0, 0
	s_mov_b32 s1, 0x40913a00
	v_mul_f64 v[2:3], v[0:1], s[2:3]
	v_cmp_nlt_f64_e32 vcc, s[8:9], v[0:1]
	v_rndne_f64_e32 v[2:3], v[2:3]
	v_fma_f64 v[4:5], v[2:3], s[4:5], v[0:1]
	v_fma_f64 v[4:5], v[2:3], s[6:7], v[4:5]
	v_cvt_i32_f64_e32 v2, v[2:3]
	v_fma_f64 v[16:17], v[4:5], s[12:13], v[16:17]
	v_fma_f64 v[16:17], v[4:5], v[16:17], s[18:19]
	v_fma_f64 v[16:17], v[4:5], v[16:17], s[20:21]
	v_fma_f64 v[16:17], v[4:5], v[16:17], s[22:23]
	v_fma_f64 v[16:17], v[4:5], v[16:17], s[24:25]
	v_fma_f64 v[16:17], v[4:5], v[16:17], s[26:27]
	v_fma_f64 v[16:17], v[4:5], v[16:17], s[28:29]
	v_fma_f64 v[16:17], v[4:5], v[16:17], s[30:31]
	v_fma_f64 v[16:17], v[4:5], v[16:17], s[34:35]
	v_fma_f64 v[16:17], v[4:5], v[16:17], 1.0
	v_fma_f64 v[4:5], v[4:5], v[16:17], 1.0
	v_ldexp_f64 v[2:3], v[4:5], v2
	v_mul_f64 v[2:3], v[2:3], s[0:1]
	v_cmp_ngt_f64_e64 s[0:1], s[10:11], v[0:1]
	v_cndmask_b32_e32 v3, v18, v3, vcc
	s_and_b64 vcc, s[0:1], vcc
	v_cndmask_b32_e32 v0, 0, v2, vcc
	v_cndmask_b32_e64 v1, 0, v3, s[0:1]
	v_add_f64 v[2:3], v[0:1], v[6:7]
	buffer_load_dword v0, off, s[56:59], 0 offset:64 ; 4-byte Folded Reload
	buffer_load_dword v1, off, s[56:59], 0 offset:68 ; 4-byte Folded Reload
	s_waitcnt vmcnt(0)
	v_add_f64 v[0:1], v[14:15], -v[0:1]
	v_div_scale_f64 v[4:5], s[0:1], v[2:3], v[2:3], v[0:1]
	v_rcp_f64_e32 v[6:7], v[4:5]
	v_fma_f64 v[14:15], -v[4:5], v[6:7], 1.0
	v_fma_f64 v[6:7], v[6:7], v[14:15], v[6:7]
	v_fma_f64 v[14:15], -v[4:5], v[6:7], 1.0
	v_fma_f64 v[6:7], v[6:7], v[14:15], v[6:7]
	v_div_scale_f64 v[14:15], vcc, v[0:1], v[2:3], v[0:1]
	v_mul_f64 v[16:17], v[14:15], v[6:7]
	v_fma_f64 v[4:5], -v[4:5], v[16:17], v[14:15]
	s_nop 1
	v_div_fmas_f64 v[4:5], v[4:5], v[6:7], v[16:17]
	v_div_fixup_f64 v[6:7], v[4:5], v[2:3], v[0:1]
	v_div_scale_f64 v[0:1], s[0:1], v[2:3], v[2:3], -1.0
	s_mov_b32 s0, 0xe2308c3a
	s_mov_b32 s1, 0x3e45798e
	v_rcp_f64_e32 v[4:5], v[0:1]
	v_fma_f64 v[14:15], -v[0:1], v[4:5], 1.0
	v_fma_f64 v[4:5], v[4:5], v[14:15], v[4:5]
	v_fma_f64 v[14:15], -v[0:1], v[4:5], 1.0
	v_fma_f64 v[4:5], v[4:5], v[14:15], v[4:5]
	v_div_scale_f64 v[14:15], vcc, -1.0, v[2:3], -1.0
	v_mul_f64 v[16:17], v[14:15], v[4:5]
	v_fma_f64 v[0:1], -v[0:1], v[16:17], v[14:15]
	s_nop 1
	v_div_fmas_f64 v[0:1], v[0:1], v[4:5], v[16:17]
                                        ; implicit-def: $vgpr4_vgpr5
	v_div_fixup_f64 v[2:3], v[0:1], v[2:3], -1.0
	v_cmp_ngt_f64_e64 s[0:1], |v[2:3]|, s[0:1]
	s_and_saveexec_b64 s[2:3], s[0:1]
	s_xor_b64 s[0:1], exec, s[2:3]
; %bb.38:
	v_mul_f64 v[4:5], s[16:17], v[6:7]
                                        ; implicit-def: $vgpr2_vgpr3
                                        ; implicit-def: $vgpr6_vgpr7
; %bb.39:
	s_andn2_saveexec_b64 s[2:3], s[0:1]
	s_cbranch_execz .LBB0_41
; %bb.40:
	v_mul_f64 v[0:1], s[16:17], v[2:3]
	s_mov_b32 s0, 0x652b82fe
	s_mov_b32 s1, 0x3ff71547
	v_mov_b32_e32 v16, 0xfca7ab0c
	v_mov_b32_e32 v17, 0x3e928af3
	s_mov_b32 s4, 0
	s_mov_b32 s5, 0xc090cc00
	v_mul_f64 v[4:5], v[0:1], s[0:1]
	s_mov_b32 s0, 0xfefa39ef
	s_mov_b32 s1, 0xbfe62e42
	v_rndne_f64_e32 v[4:5], v[4:5]
	v_fma_f64 v[14:15], v[4:5], s[0:1], v[0:1]
	s_mov_b32 s0, 0x3b39803f
	s_mov_b32 s1, 0xbc7abc9e
	v_fma_f64 v[14:15], v[4:5], s[0:1], v[14:15]
	s_mov_b32 s0, 0x6a5dcb37
	s_mov_b32 s1, 0x3e5ade15
	v_cvt_i32_f64_e32 v4, v[4:5]
	v_fma_f64 v[16:17], v[14:15], s[0:1], v[16:17]
	s_mov_b32 s0, 0x623fde64
	s_mov_b32 s1, 0x3ec71dee
	v_fma_f64 v[16:17], v[14:15], v[16:17], s[0:1]
	s_mov_b32 s0, 0x7c89e6b0
	s_mov_b32 s1, 0x3efa0199
	;; [unrolled: 3-line block ×9, first 2 shown]
	v_cmp_nlt_f64_e32 vcc, s[0:1], v[0:1]
	v_cmp_ngt_f64_e64 s[0:1], s[4:5], v[0:1]
	v_fma_f64 v[16:17], v[14:15], v[16:17], 1.0
	v_fma_f64 v[14:15], v[14:15], v[16:17], 1.0
	v_ldexp_f64 v[4:5], v[14:15], v4
	v_mov_b32_e32 v14, 0x7ff00000
	v_mov_b32_e32 v15, 0xbff00000
	v_add_f64 v[4:5], v[4:5], -1.0
	v_cndmask_b32_e32 v5, v14, v5, vcc
	s_and_b64 vcc, s[0:1], vcc
	v_cndmask_b32_e64 v1, v15, v5, s[0:1]
	v_cndmask_b32_e32 v0, 0, v4, vcc
	v_mul_f64 v[0:1], v[6:7], v[0:1]
	v_div_scale_f64 v[4:5], s[0:1], v[2:3], v[2:3], v[0:1]
	v_div_scale_f64 v[16:17], vcc, v[0:1], v[2:3], v[0:1]
	v_rcp_f64_e32 v[6:7], v[4:5]
	v_fma_f64 v[14:15], -v[4:5], v[6:7], 1.0
	v_fma_f64 v[6:7], v[6:7], v[14:15], v[6:7]
	v_fma_f64 v[14:15], -v[4:5], v[6:7], 1.0
	v_fma_f64 v[6:7], v[6:7], v[14:15], v[6:7]
	v_mul_f64 v[14:15], v[16:17], v[6:7]
	v_fma_f64 v[4:5], -v[4:5], v[14:15], v[16:17]
	v_div_fmas_f64 v[4:5], v[4:5], v[6:7], v[14:15]
	v_div_fixup_f64 v[4:5], v[4:5], v[2:3], v[0:1]
.LBB0_41:
	s_or_b64 exec, exec, s[2:3]
	buffer_load_dword v0, off, s[56:59], 0 offset:64 ; 4-byte Folded Reload
	buffer_load_dword v1, off, s[56:59], 0 offset:68 ; 4-byte Folded Reload
	s_mov_b32 s0, 0
	s_mov_b32 s1, 0x40140000
	;; [unrolled: 1-line block ×20, first 2 shown]
	s_waitcnt vmcnt(0)
	v_add_f64 v[0:1], v[0:1], v[4:5]
	global_store_dwordx2 v[58:59], v[0:1], off
	v_add_f64 v[0:1], v[56:57], s[0:1]
	s_mov_b32 s0, 0xfca7ab0c
	s_mov_b32 s1, 0x3e928af3
	v_mov_b32_e32 v15, s1
	v_mov_b32_e32 v14, s0
	s_mov_b32 s0, 0xd70a3d71
	s_mov_b32 s1, 0x3fe570a3
	v_mul_f64 v[2:3], v[0:1], s[4:5]
	v_rndne_f64_e32 v[2:3], v[2:3]
	v_fma_f64 v[4:5], v[2:3], s[6:7], v[0:1]
	v_fma_f64 v[4:5], v[2:3], s[8:9], v[4:5]
	v_cvt_i32_f64_e32 v2, v[2:3]
	v_fma_f64 v[6:7], v[4:5], s[10:11], v[14:15]
	v_fma_f64 v[6:7], v[4:5], v[6:7], s[12:13]
	;; [unrolled: 1-line block ×9, first 2 shown]
	v_fma_f64 v[6:7], v[4:5], v[6:7], 1.0
	v_fma_f64 v[4:5], v[4:5], v[6:7], 1.0
	v_ldexp_f64 v[2:3], v[4:5], v2
	v_add_f64 v[2:3], v[2:3], 1.0
	v_div_scale_f64 v[4:5], s[2:3], v[2:3], v[2:3], s[0:1]
	s_mov_b32 s2, 0
	s_mov_b32 s3, 0xc090cc00
	v_rcp_f64_e32 v[6:7], v[4:5]
	v_fma_f64 v[16:17], -v[4:5], v[6:7], 1.0
	v_fma_f64 v[6:7], v[6:7], v[16:17], v[6:7]
	v_fma_f64 v[16:17], -v[4:5], v[6:7], 1.0
	v_fma_f64 v[6:7], v[6:7], v[16:17], v[6:7]
	v_div_scale_f64 v[16:17], vcc, s[0:1], v[2:3], s[0:1]
	v_mul_f64 v[18:19], v[16:17], v[6:7]
	v_fma_f64 v[4:5], -v[4:5], v[18:19], v[16:17]
	s_nop 1
	v_div_fmas_f64 v[4:5], v[4:5], v[6:7], v[18:19]
	v_cmp_nlt_f64_e32 vcc, s[24:25], v[0:1]
	v_div_fixup_f64 v[2:3], v[4:5], v[2:3], s[0:1]
	s_mov_b32 s0, 0x51eb851f
	s_mov_b32 s1, 0x3fd51eb8
	v_mov_b32_e32 v4, 0x51eb851f
	v_add_f64 v[2:3], v[2:3], s[0:1]
	s_mov_b32 s0, 0
	s_mov_b32 s1, 0x40040000
	v_cndmask_b32_e32 v2, v4, v2, vcc
	v_mov_b32_e32 v4, 0x3fd51eb8
	v_cndmask_b32_e32 v3, v4, v3, vcc
	v_cmp_ngt_f64_e32 vcc, s[2:3], v[0:1]
	v_mov_b32_e32 v0, 0x3ff00000
	v_cndmask_b32_e32 v7, v0, v3, vcc
	v_cndmask_b32_e32 v6, 0, v2, vcc
	v_add_f64 v[2:3], -v[48:49], s[0:1]
	s_mov_b32 s0, 0
	s_mov_b32 s1, 0x403f0000
	v_mul_f64 v[0:1], v[2:3], s[4:5]
	v_rndne_f64_e32 v[4:5], v[0:1]
	v_fma_f64 v[0:1], v[4:5], s[6:7], v[2:3]
	v_fma_f64 v[0:1], v[4:5], s[8:9], v[0:1]
	v_cvt_i32_f64_e32 v4, v[4:5]
	v_fma_f64 v[16:17], v[0:1], s[10:11], v[14:15]
	v_fma_f64 v[16:17], v[0:1], v[16:17], s[12:13]
	;; [unrolled: 1-line block ×9, first 2 shown]
	v_fma_f64 v[16:17], v[0:1], v[16:17], 1.0
	v_fma_f64 v[0:1], v[0:1], v[16:17], 1.0
	v_ldexp_f64 v[0:1], v[0:1], v4
	v_add_f64 v[0:1], v[0:1], 1.0
	v_div_scale_f64 v[4:5], s[36:37], v[0:1], v[0:1], s[0:1]
	v_rcp_f64_e32 v[16:17], v[4:5]
	v_fma_f64 v[18:19], -v[4:5], v[16:17], 1.0
	v_fma_f64 v[16:17], v[16:17], v[18:19], v[16:17]
	v_fma_f64 v[18:19], -v[4:5], v[16:17], 1.0
	v_fma_f64 v[16:17], v[16:17], v[18:19], v[16:17]
	v_div_scale_f64 v[18:19], vcc, s[0:1], v[0:1], s[0:1]
	v_mul_f64 v[20:21], v[18:19], v[16:17]
	v_fma_f64 v[4:5], -v[4:5], v[20:21], v[18:19]
	s_nop 1
	v_div_fmas_f64 v[4:5], v[4:5], v[16:17], v[20:21]
	v_cmp_nlt_f64_e32 vcc, s[24:25], v[2:3]
	v_div_fixup_f64 v[0:1], v[4:5], v[0:1], s[0:1]
	v_cmp_ngt_f64_e64 s[0:1], s[2:3], v[2:3]
	v_mov_b32_e32 v2, 0x403f0000
	v_cndmask_b32_e32 v1, 0, v1, vcc
	s_and_b64 vcc, s[0:1], vcc
	v_cndmask_b32_e64 v1, v2, v1, s[0:1]
	s_mov_b32 s0, 0
	s_mov_b32 s1, 0x40540000
	v_div_scale_f64 v[2:3], s[36:37], v[10:11], v[10:11], s[0:1]
	v_cndmask_b32_e32 v0, 0, v0, vcc
	v_rcp_f64_e32 v[4:5], v[2:3]
	v_fma_f64 v[16:17], -v[2:3], v[4:5], 1.0
	v_fma_f64 v[4:5], v[4:5], v[16:17], v[4:5]
	v_fma_f64 v[16:17], -v[2:3], v[4:5], 1.0
	v_fma_f64 v[4:5], v[4:5], v[16:17], v[4:5]
	v_div_scale_f64 v[16:17], vcc, s[0:1], v[10:11], s[0:1]
	v_mul_f64 v[18:19], v[16:17], v[4:5]
	v_fma_f64 v[2:3], -v[2:3], v[18:19], v[16:17]
	s_nop 1
	v_div_fmas_f64 v[2:3], v[2:3], v[4:5], v[18:19]
	v_div_fixup_f64 v[2:3], v[2:3], v[10:11], s[0:1]
	s_mov_b32 s0, 0
	s_mov_b32 s1, 0x406e0000
	v_add_f64 v[10:11], v[0:1], v[2:3]
	v_div_scale_f64 v[0:1], s[36:37], s[0:1], s[0:1], v[12:13]
	v_rcp_f64_e32 v[2:3], v[0:1]
	v_fma_f64 v[4:5], -v[0:1], v[2:3], 1.0
	v_fma_f64 v[2:3], v[2:3], v[4:5], v[2:3]
	v_fma_f64 v[4:5], -v[0:1], v[2:3], 1.0
	v_fma_f64 v[2:3], v[2:3], v[4:5], v[2:3]
	v_div_scale_f64 v[4:5], vcc, v[12:13], s[0:1], v[12:13]
	v_mul_f64 v[16:17], v[4:5], v[2:3]
	v_fma_f64 v[0:1], -v[0:1], v[16:17], v[4:5]
	s_nop 1
	v_div_fmas_f64 v[0:1], v[0:1], v[2:3], v[16:17]
	v_div_fixup_f64 v[0:1], v[0:1], s[0:1], v[12:13]
	s_mov_b32 s0, 0
	s_mov_b32 s1, 0x40819000
	v_mul_f64 v[2:3], v[0:1], s[4:5]
	v_cmp_nlt_f64_e32 vcc, s[24:25], v[0:1]
	v_rndne_f64_e32 v[2:3], v[2:3]
	v_fma_f64 v[4:5], v[2:3], s[6:7], v[0:1]
	v_fma_f64 v[4:5], v[2:3], s[8:9], v[4:5]
	v_cvt_i32_f64_e32 v2, v[2:3]
	v_fma_f64 v[12:13], v[4:5], s[10:11], v[14:15]
	v_fma_f64 v[12:13], v[4:5], v[12:13], s[12:13]
	;; [unrolled: 1-line block ×9, first 2 shown]
	v_fma_f64 v[12:13], v[4:5], v[12:13], 1.0
	v_fma_f64 v[4:5], v[4:5], v[12:13], 1.0
	v_ldexp_f64 v[2:3], v[4:5], v2
	v_mov_b32_e32 v4, 0x7ff00000
	v_mul_f64 v[2:3], v[2:3], s[0:1]
	v_cmp_ngt_f64_e64 s[0:1], s[2:3], v[0:1]
	v_cndmask_b32_e32 v3, v4, v3, vcc
	s_and_b64 vcc, s[0:1], vcc
	v_cndmask_b32_e32 v0, 0, v2, vcc
	v_cndmask_b32_e64 v1, 0, v3, s[0:1]
	v_add_f64 v[2:3], v[0:1], v[10:11]
	buffer_load_dword v0, off, s[56:59], 0 offset:72 ; 4-byte Folded Reload
	buffer_load_dword v1, off, s[56:59], 0 offset:76 ; 4-byte Folded Reload
	s_waitcnt vmcnt(0)
	v_add_f64 v[0:1], v[6:7], -v[0:1]
	v_div_scale_f64 v[4:5], s[0:1], v[2:3], v[2:3], v[0:1]
	v_rcp_f64_e32 v[6:7], v[4:5]
	v_fma_f64 v[10:11], -v[4:5], v[6:7], 1.0
	v_fma_f64 v[6:7], v[6:7], v[10:11], v[6:7]
	v_fma_f64 v[10:11], -v[4:5], v[6:7], 1.0
	v_fma_f64 v[6:7], v[6:7], v[10:11], v[6:7]
	v_div_scale_f64 v[10:11], vcc, v[0:1], v[2:3], v[0:1]
	v_mul_f64 v[12:13], v[10:11], v[6:7]
	v_fma_f64 v[4:5], -v[4:5], v[12:13], v[10:11]
	s_nop 1
	v_div_fmas_f64 v[4:5], v[4:5], v[6:7], v[12:13]
	v_div_fixup_f64 v[6:7], v[4:5], v[2:3], v[0:1]
	v_div_scale_f64 v[0:1], s[0:1], v[2:3], v[2:3], -1.0
	s_mov_b32 s0, 0xe2308c3a
	s_mov_b32 s1, 0x3e45798e
	v_rcp_f64_e32 v[4:5], v[0:1]
	v_fma_f64 v[10:11], -v[0:1], v[4:5], 1.0
	v_fma_f64 v[4:5], v[4:5], v[10:11], v[4:5]
	v_fma_f64 v[10:11], -v[0:1], v[4:5], 1.0
	v_fma_f64 v[4:5], v[4:5], v[10:11], v[4:5]
	v_div_scale_f64 v[10:11], vcc, -1.0, v[2:3], -1.0
	v_mul_f64 v[12:13], v[10:11], v[4:5]
	v_fma_f64 v[0:1], -v[0:1], v[12:13], v[10:11]
	s_nop 1
	v_div_fmas_f64 v[0:1], v[0:1], v[4:5], v[12:13]
                                        ; implicit-def: $vgpr4_vgpr5
	v_div_fixup_f64 v[2:3], v[0:1], v[2:3], -1.0
	v_cmp_ngt_f64_e64 s[0:1], |v[2:3]|, s[0:1]
	s_and_saveexec_b64 s[2:3], s[0:1]
	s_xor_b64 s[0:1], exec, s[2:3]
; %bb.42:
	v_mul_f64 v[4:5], s[16:17], v[6:7]
                                        ; implicit-def: $vgpr2_vgpr3
                                        ; implicit-def: $vgpr6_vgpr7
; %bb.43:
	s_andn2_saveexec_b64 s[2:3], s[0:1]
	s_cbranch_execz .LBB0_45
; %bb.44:
	v_mul_f64 v[0:1], s[16:17], v[2:3]
	s_mov_b32 s0, 0x652b82fe
	s_mov_b32 s1, 0x3ff71547
	v_mov_b32_e32 v12, 0xfca7ab0c
	v_mov_b32_e32 v13, 0x3e928af3
	s_mov_b32 s4, 0
	s_mov_b32 s5, 0xc090cc00
	v_mul_f64 v[4:5], v[0:1], s[0:1]
	s_mov_b32 s0, 0xfefa39ef
	s_mov_b32 s1, 0xbfe62e42
	v_rndne_f64_e32 v[4:5], v[4:5]
	v_fma_f64 v[10:11], v[4:5], s[0:1], v[0:1]
	s_mov_b32 s0, 0x3b39803f
	s_mov_b32 s1, 0xbc7abc9e
	v_fma_f64 v[10:11], v[4:5], s[0:1], v[10:11]
	s_mov_b32 s0, 0x6a5dcb37
	s_mov_b32 s1, 0x3e5ade15
	v_cvt_i32_f64_e32 v4, v[4:5]
	v_fma_f64 v[12:13], v[10:11], s[0:1], v[12:13]
	s_mov_b32 s0, 0x623fde64
	s_mov_b32 s1, 0x3ec71dee
	v_fma_f64 v[12:13], v[10:11], v[12:13], s[0:1]
	s_mov_b32 s0, 0x7c89e6b0
	s_mov_b32 s1, 0x3efa0199
	;; [unrolled: 3-line block ×9, first 2 shown]
	v_cmp_nlt_f64_e32 vcc, s[0:1], v[0:1]
	v_cmp_ngt_f64_e64 s[0:1], s[4:5], v[0:1]
	v_fma_f64 v[12:13], v[10:11], v[12:13], 1.0
	v_fma_f64 v[10:11], v[10:11], v[12:13], 1.0
	v_ldexp_f64 v[4:5], v[10:11], v4
	v_mov_b32_e32 v10, 0x7ff00000
	v_mov_b32_e32 v11, 0xbff00000
	v_add_f64 v[4:5], v[4:5], -1.0
	v_cndmask_b32_e32 v5, v10, v5, vcc
	s_and_b64 vcc, s[0:1], vcc
	v_cndmask_b32_e64 v1, v11, v5, s[0:1]
	v_cndmask_b32_e32 v0, 0, v4, vcc
	v_mul_f64 v[0:1], v[6:7], v[0:1]
	v_div_scale_f64 v[4:5], s[0:1], v[2:3], v[2:3], v[0:1]
	v_div_scale_f64 v[12:13], vcc, v[0:1], v[2:3], v[0:1]
	v_rcp_f64_e32 v[6:7], v[4:5]
	v_fma_f64 v[10:11], -v[4:5], v[6:7], 1.0
	v_fma_f64 v[6:7], v[6:7], v[10:11], v[6:7]
	v_fma_f64 v[10:11], -v[4:5], v[6:7], 1.0
	v_fma_f64 v[6:7], v[6:7], v[10:11], v[6:7]
	v_mul_f64 v[10:11], v[12:13], v[6:7]
	v_fma_f64 v[4:5], -v[4:5], v[10:11], v[12:13]
	v_div_fmas_f64 v[4:5], v[4:5], v[6:7], v[10:11]
	v_div_fixup_f64 v[4:5], v[4:5], v[2:3], v[0:1]
.LBB0_45:
	s_or_b64 exec, exec, s[2:3]
	buffer_load_dword v0, off, s[56:59], 0 offset:72 ; 4-byte Folded Reload
	buffer_load_dword v1, off, s[56:59], 0 offset:76 ; 4-byte Folded Reload
	s_mov_b32 s0, 0
	s_mov_b32 s1, 0x40790000
	s_waitcnt vmcnt(0)
	v_add_f64 v[0:1], v[0:1], v[4:5]
	global_store_dwordx2 v[52:53], v[0:1], off
	v_mul_f64 v[0:1], v[28:29], v[28:29]
	buffer_store_dword v0, off, s[56:59], 0 offset:376 ; 4-byte Folded Spill
	s_nop 0
	buffer_store_dword v1, off, s[56:59], 0 offset:380 ; 4-byte Folded Spill
	v_fma_f64 v[2:3], v[0:1], s[0:1], 1.0
	s_mov_b32 s0, 0x33333333
	s_mov_b32 s1, 0x3fe33333
	v_div_scale_f64 v[0:1], s[2:3], v[2:3], v[2:3], s[0:1]
	v_rcp_f64_e32 v[4:5], v[0:1]
	v_fma_f64 v[6:7], -v[0:1], v[4:5], 1.0
	v_fma_f64 v[4:5], v[4:5], v[6:7], v[4:5]
	v_fma_f64 v[6:7], -v[0:1], v[4:5], 1.0
	v_fma_f64 v[4:5], v[4:5], v[6:7], v[4:5]
	v_div_scale_f64 v[6:7], vcc, s[0:1], v[2:3], s[0:1]
	v_mul_f64 v[10:11], v[6:7], v[4:5]
	v_fma_f64 v[0:1], -v[0:1], v[10:11], v[6:7]
	s_nop 1
	v_div_fmas_f64 v[0:1], v[0:1], v[4:5], v[10:11]
	v_div_fixup_f64 v[0:1], v[0:1], v[2:3], s[0:1]
	s_mov_b32 s0, 0x9999999a
	s_mov_b32 s1, 0x3fd99999
	v_add_f64 v[0:1], v[0:1], s[0:1]
	s_mov_b32 s0, 0
	s_mov_b32 s1, 0x40540000
	v_div_scale_f64 v[4:5], s[2:3], v[2:3], v[2:3], s[0:1]
	v_rcp_f64_e32 v[6:7], v[4:5]
	v_fma_f64 v[10:11], -v[4:5], v[6:7], 1.0
	v_fma_f64 v[6:7], v[6:7], v[10:11], v[6:7]
	v_fma_f64 v[10:11], -v[4:5], v[6:7], 1.0
	v_fma_f64 v[6:7], v[6:7], v[10:11], v[6:7]
	v_div_scale_f64 v[10:11], vcc, s[0:1], v[2:3], s[0:1]
	v_mul_f64 v[12:13], v[10:11], v[6:7]
	v_fma_f64 v[4:5], -v[4:5], v[12:13], v[10:11]
	s_nop 1
	v_div_fmas_f64 v[4:5], v[4:5], v[6:7], v[12:13]
	v_div_fixup_f64 v[2:3], v[4:5], v[2:3], s[0:1]
	buffer_load_dword v4, off, s[56:59], 0 offset:80 ; 4-byte Folded Reload
	buffer_load_dword v5, off, s[56:59], 0 offset:84 ; 4-byte Folded Reload
	v_add_f64 v[2:3], v[2:3], 2.0
	s_waitcnt vmcnt(0)
	v_add_f64 v[0:1], v[0:1], -v[4:5]
	v_div_scale_f64 v[4:5], s[0:1], v[2:3], v[2:3], v[0:1]
	v_rcp_f64_e32 v[6:7], v[4:5]
	v_fma_f64 v[10:11], -v[4:5], v[6:7], 1.0
	v_fma_f64 v[6:7], v[6:7], v[10:11], v[6:7]
	v_fma_f64 v[10:11], -v[4:5], v[6:7], 1.0
	v_fma_f64 v[6:7], v[6:7], v[10:11], v[6:7]
	v_div_scale_f64 v[10:11], vcc, v[0:1], v[2:3], v[0:1]
	v_mul_f64 v[12:13], v[10:11], v[6:7]
	v_fma_f64 v[4:5], -v[4:5], v[12:13], v[10:11]
	s_nop 1
	v_div_fmas_f64 v[4:5], v[4:5], v[6:7], v[12:13]
	v_div_fixup_f64 v[6:7], v[4:5], v[2:3], v[0:1]
	v_div_scale_f64 v[0:1], s[0:1], v[2:3], v[2:3], -1.0
	s_mov_b32 s0, 0xe2308c3a
	s_mov_b32 s1, 0x3e45798e
	v_rcp_f64_e32 v[4:5], v[0:1]
	v_fma_f64 v[10:11], -v[0:1], v[4:5], 1.0
	v_fma_f64 v[4:5], v[4:5], v[10:11], v[4:5]
	v_fma_f64 v[10:11], -v[0:1], v[4:5], 1.0
	v_fma_f64 v[4:5], v[4:5], v[10:11], v[4:5]
	v_div_scale_f64 v[10:11], vcc, -1.0, v[2:3], -1.0
	v_mul_f64 v[12:13], v[10:11], v[4:5]
	v_fma_f64 v[0:1], -v[0:1], v[12:13], v[10:11]
	s_nop 1
	v_div_fmas_f64 v[0:1], v[0:1], v[4:5], v[12:13]
                                        ; implicit-def: $vgpr4_vgpr5
	v_div_fixup_f64 v[2:3], v[0:1], v[2:3], -1.0
	v_cmp_ngt_f64_e64 s[0:1], |v[2:3]|, s[0:1]
	s_and_saveexec_b64 s[2:3], s[0:1]
	s_xor_b64 s[0:1], exec, s[2:3]
; %bb.46:
	v_mul_f64 v[4:5], s[16:17], v[6:7]
                                        ; implicit-def: $vgpr2_vgpr3
                                        ; implicit-def: $vgpr6_vgpr7
; %bb.47:
	s_andn2_saveexec_b64 s[2:3], s[0:1]
	s_cbranch_execz .LBB0_49
; %bb.48:
	v_mul_f64 v[0:1], s[16:17], v[2:3]
	s_mov_b32 s0, 0x652b82fe
	s_mov_b32 s1, 0x3ff71547
	v_mov_b32_e32 v12, 0xfca7ab0c
	v_mov_b32_e32 v13, 0x3e928af3
	s_mov_b32 s4, 0
	s_mov_b32 s5, 0xc090cc00
	v_mul_f64 v[4:5], v[0:1], s[0:1]
	s_mov_b32 s0, 0xfefa39ef
	s_mov_b32 s1, 0xbfe62e42
	v_rndne_f64_e32 v[4:5], v[4:5]
	v_fma_f64 v[10:11], v[4:5], s[0:1], v[0:1]
	s_mov_b32 s0, 0x3b39803f
	s_mov_b32 s1, 0xbc7abc9e
	v_fma_f64 v[10:11], v[4:5], s[0:1], v[10:11]
	s_mov_b32 s0, 0x6a5dcb37
	s_mov_b32 s1, 0x3e5ade15
	v_cvt_i32_f64_e32 v4, v[4:5]
	v_fma_f64 v[12:13], v[10:11], s[0:1], v[12:13]
	s_mov_b32 s0, 0x623fde64
	s_mov_b32 s1, 0x3ec71dee
	v_fma_f64 v[12:13], v[10:11], v[12:13], s[0:1]
	s_mov_b32 s0, 0x7c89e6b0
	s_mov_b32 s1, 0x3efa0199
	v_fma_f64 v[12:13], v[10:11], v[12:13], s[0:1]
	s_mov_b32 s0, 0x14761f6e
	s_mov_b32 s1, 0x3f2a01a0
	v_fma_f64 v[12:13], v[10:11], v[12:13], s[0:1]
	s_mov_b32 s0, 0x1852b7b0
	s_mov_b32 s1, 0x3f56c16c
	v_fma_f64 v[12:13], v[10:11], v[12:13], s[0:1]
	s_mov_b32 s0, 0x11122322
	s_mov_b32 s1, 0x3f811111
	v_fma_f64 v[12:13], v[10:11], v[12:13], s[0:1]
	s_mov_b32 s0, 0x555502a1
	s_mov_b32 s1, 0x3fa55555
	v_fma_f64 v[12:13], v[10:11], v[12:13], s[0:1]
	s_mov_b32 s0, 0x55555511
	s_mov_b32 s1, 0x3fc55555
	v_fma_f64 v[12:13], v[10:11], v[12:13], s[0:1]
	s_mov_b32 s0, 11
	s_mov_b32 s1, 0x3fe00000
	v_fma_f64 v[12:13], v[10:11], v[12:13], s[0:1]
	s_mov_b32 s0, 0
	s_mov_b32 s1, 0x40900000
	v_cmp_nlt_f64_e32 vcc, s[0:1], v[0:1]
	v_cmp_ngt_f64_e64 s[0:1], s[4:5], v[0:1]
	v_fma_f64 v[12:13], v[10:11], v[12:13], 1.0
	v_fma_f64 v[10:11], v[10:11], v[12:13], 1.0
	v_ldexp_f64 v[4:5], v[10:11], v4
	v_mov_b32_e32 v10, 0x7ff00000
	v_mov_b32_e32 v11, 0xbff00000
	v_add_f64 v[4:5], v[4:5], -1.0
	v_cndmask_b32_e32 v5, v10, v5, vcc
	s_and_b64 vcc, s[0:1], vcc
	v_cndmask_b32_e64 v1, v11, v5, s[0:1]
	v_cndmask_b32_e32 v0, 0, v4, vcc
	v_mul_f64 v[0:1], v[6:7], v[0:1]
	v_div_scale_f64 v[4:5], s[0:1], v[2:3], v[2:3], v[0:1]
	v_div_scale_f64 v[12:13], vcc, v[0:1], v[2:3], v[0:1]
	v_rcp_f64_e32 v[6:7], v[4:5]
	v_fma_f64 v[10:11], -v[4:5], v[6:7], 1.0
	v_fma_f64 v[6:7], v[6:7], v[10:11], v[6:7]
	v_fma_f64 v[10:11], -v[4:5], v[6:7], 1.0
	v_fma_f64 v[6:7], v[6:7], v[10:11], v[6:7]
	v_mul_f64 v[10:11], v[12:13], v[6:7]
	v_fma_f64 v[4:5], -v[4:5], v[10:11], v[12:13]
	v_div_fmas_f64 v[4:5], v[4:5], v[6:7], v[10:11]
	v_div_fixup_f64 v[4:5], v[4:5], v[2:3], v[0:1]
.LBB0_49:
	s_or_b64 exec, exec, s[2:3]
	buffer_load_dword v0, off, s[56:59], 0 offset:80 ; 4-byte Folded Reload
	buffer_load_dword v1, off, s[56:59], 0 offset:84 ; 4-byte Folded Reload
	s_mov_b32 s4, 0x652b82fe
	s_mov_b32 s5, 0x3ff71547
	;; [unrolled: 1-line block ×4, first 2 shown]
	v_mov_b32_e32 v11, s1
	v_mov_b32_e32 v10, s0
	s_mov_b32 s24, 0x1852b7b0
	s_mov_b32 s25, 0x3f56c16c
	;; [unrolled: 1-line block ×6, first 2 shown]
	s_waitcnt vmcnt(0)
	v_add_f64 v[0:1], v[0:1], v[4:5]
	global_store_dwordx2 v[42:43], v[0:1], off
	v_add_f64 v[0:1], v[8:9], 4.0
	v_mul_f64 v[2:3], v[0:1], s[4:5]
	v_rndne_f64_e32 v[2:3], v[2:3]
	v_fma_f64 v[4:5], v[2:3], s[6:7], v[0:1]
	v_fma_f64 v[4:5], v[2:3], s[8:9], v[4:5]
	v_cvt_i32_f64_e32 v2, v[2:3]
	v_fma_f64 v[6:7], v[4:5], s[10:11], v[10:11]
	v_fma_f64 v[6:7], v[4:5], v[6:7], s[12:13]
	;; [unrolled: 1-line block ×9, first 2 shown]
	v_fma_f64 v[6:7], v[4:5], v[6:7], 1.0
	v_fma_f64 v[4:5], v[4:5], v[6:7], 1.0
	v_ldexp_f64 v[2:3], v[4:5], v2
	v_add_f64 v[2:3], v[2:3], 1.0
	v_div_scale_f64 v[4:5], s[0:1], v[2:3], v[2:3], 1.0
	v_cmp_ngt_f64_e64 s[0:1], s[2:3], v[0:1]
	v_rcp_f64_e32 v[6:7], v[4:5]
	v_fma_f64 v[12:13], -v[4:5], v[6:7], 1.0
	v_fma_f64 v[6:7], v[6:7], v[12:13], v[6:7]
	v_fma_f64 v[12:13], -v[4:5], v[6:7], 1.0
	v_fma_f64 v[6:7], v[6:7], v[12:13], v[6:7]
	v_div_scale_f64 v[12:13], vcc, 1.0, v[2:3], 1.0
	v_mul_f64 v[14:15], v[12:13], v[6:7]
	v_fma_f64 v[4:5], -v[4:5], v[14:15], v[12:13]
	s_nop 1
	v_div_fmas_f64 v[4:5], v[4:5], v[6:7], v[14:15]
	v_cmp_nlt_f64_e32 vcc, s[22:23], v[0:1]
	v_mov_b32_e32 v0, 0x3ff00000
	v_div_fixup_f64 v[2:3], v[4:5], v[2:3], 1.0
	v_cndmask_b32_e32 v3, 0, v3, vcc
	s_and_b64 vcc, s[0:1], vcc
	v_cndmask_b32_e32 v6, 0, v2, vcc
	v_cndmask_b32_e64 v7, v0, v3, s[0:1]
	v_add_f64 v[2:3], v[8:9], -4.0
	s_mov_b32 s0, 0
	s_mov_b32 s1, 0x40140000
	v_mul_f64 v[0:1], v[2:3], s[4:5]
	v_rndne_f64_e32 v[4:5], v[0:1]
	v_fma_f64 v[0:1], v[4:5], s[6:7], v[2:3]
	v_fma_f64 v[0:1], v[4:5], s[8:9], v[0:1]
	v_cvt_i32_f64_e32 v4, v[4:5]
	v_fma_f64 v[8:9], v[0:1], s[10:11], v[10:11]
	v_fma_f64 v[8:9], v[0:1], v[8:9], s[12:13]
	;; [unrolled: 1-line block ×9, first 2 shown]
	v_fma_f64 v[8:9], v[0:1], v[8:9], 1.0
	v_fma_f64 v[0:1], v[0:1], v[8:9], 1.0
	v_ldexp_f64 v[0:1], v[0:1], v4
	v_add_f64 v[0:1], v[0:1], 1.0
	v_div_scale_f64 v[4:5], s[36:37], v[0:1], v[0:1], s[0:1]
	v_rcp_f64_e32 v[8:9], v[4:5]
	v_fma_f64 v[12:13], -v[4:5], v[8:9], 1.0
	v_fma_f64 v[8:9], v[8:9], v[12:13], v[8:9]
	v_fma_f64 v[12:13], -v[4:5], v[8:9], 1.0
	v_fma_f64 v[8:9], v[8:9], v[12:13], v[8:9]
	v_div_scale_f64 v[12:13], vcc, s[0:1], v[0:1], s[0:1]
	v_mul_f64 v[14:15], v[12:13], v[8:9]
	v_fma_f64 v[4:5], -v[4:5], v[14:15], v[12:13]
	s_nop 1
	v_div_fmas_f64 v[4:5], v[4:5], v[8:9], v[14:15]
	v_cmp_nlt_f64_e32 vcc, s[22:23], v[2:3]
	v_div_fixup_f64 v[0:1], v[4:5], v[0:1], s[0:1]
	s_mov_b32 s0, 0
	s_mov_b32 s1, 0x40080000
	v_mov_b32_e32 v4, 0x40080000
	v_add_f64 v[0:1], v[0:1], s[0:1]
	v_cmp_ngt_f64_e64 s[0:1], s[2:3], v[2:3]
	v_cndmask_b32_e32 v1, v4, v1, vcc
	s_and_b64 vcc, s[0:1], vcc
	v_cndmask_b32_e32 v8, 0, v0, vcc
	v_mov_b32_e32 v0, 0x40200000
	v_cndmask_b32_e64 v9, v0, v1, s[0:1]
	s_mov_b32 s0, 0
	s_mov_b32 s1, 0x40468000
	v_add_f64 v[0:1], v[30:31], s[0:1]
	s_mov_b32 s0, 0
	s_mov_b32 s1, 0xc0740000
	v_mul_f64 v[0:1], v[0:1], v[0:1]
	v_div_scale_f64 v[2:3], s[36:37], s[0:1], s[0:1], v[0:1]
	v_rcp_f64_e32 v[4:5], v[2:3]
	v_fma_f64 v[12:13], -v[2:3], v[4:5], 1.0
	v_fma_f64 v[4:5], v[4:5], v[12:13], v[4:5]
	v_fma_f64 v[12:13], -v[2:3], v[4:5], 1.0
	v_fma_f64 v[4:5], v[4:5], v[12:13], v[4:5]
	v_div_scale_f64 v[12:13], vcc, v[0:1], s[0:1], v[0:1]
	v_mul_f64 v[14:15], v[12:13], v[4:5]
	v_fma_f64 v[2:3], -v[2:3], v[14:15], v[12:13]
	s_nop 1
	v_div_fmas_f64 v[2:3], v[2:3], v[4:5], v[14:15]
	v_div_fixup_f64 v[0:1], v[2:3], s[0:1], v[0:1]
	s_mov_b32 s0, 0
	s_mov_b32 s1, 0x40554000
	v_mul_f64 v[2:3], v[0:1], s[4:5]
	v_cmp_nlt_f64_e32 vcc, s[22:23], v[0:1]
	v_rndne_f64_e32 v[2:3], v[2:3]
	v_fma_f64 v[4:5], v[2:3], s[6:7], v[0:1]
	v_fma_f64 v[4:5], v[2:3], s[8:9], v[4:5]
	v_cvt_i32_f64_e32 v2, v[2:3]
	v_fma_f64 v[10:11], v[4:5], s[10:11], v[10:11]
	v_fma_f64 v[10:11], v[4:5], v[10:11], s[12:13]
	v_fma_f64 v[10:11], v[4:5], v[10:11], s[18:19]
	v_fma_f64 v[10:11], v[4:5], v[10:11], s[20:21]
	v_fma_f64 v[10:11], v[4:5], v[10:11], s[24:25]
	v_fma_f64 v[10:11], v[4:5], v[10:11], s[26:27]
	v_fma_f64 v[10:11], v[4:5], v[10:11], s[28:29]
	v_fma_f64 v[10:11], v[4:5], v[10:11], s[30:31]
	v_fma_f64 v[10:11], v[4:5], v[10:11], s[34:35]
	v_fma_f64 v[10:11], v[4:5], v[10:11], 1.0
	v_fma_f64 v[4:5], v[4:5], v[10:11], 1.0
	v_ldexp_f64 v[2:3], v[4:5], v2
	v_mov_b32_e32 v4, 0x7ff00000
	v_mul_f64 v[2:3], v[2:3], s[0:1]
	v_cmp_ngt_f64_e64 s[0:1], s[2:3], v[0:1]
	v_cndmask_b32_e32 v3, v4, v3, vcc
	s_and_b64 vcc, s[0:1], vcc
	v_cndmask_b32_e32 v0, 0, v2, vcc
	v_cndmask_b32_e64 v1, 0, v3, s[0:1]
	v_add_f64 v[2:3], v[0:1], v[8:9]
	buffer_load_dword v0, off, s[56:59], 0  ; 4-byte Folded Reload
	buffer_load_dword v1, off, s[56:59], 0 offset:4 ; 4-byte Folded Reload
	s_waitcnt vmcnt(0)
	v_add_f64 v[0:1], v[6:7], -v[0:1]
	v_div_scale_f64 v[4:5], s[0:1], v[2:3], v[2:3], v[0:1]
	v_rcp_f64_e32 v[6:7], v[4:5]
	v_fma_f64 v[8:9], -v[4:5], v[6:7], 1.0
	v_fma_f64 v[6:7], v[6:7], v[8:9], v[6:7]
	v_fma_f64 v[8:9], -v[4:5], v[6:7], 1.0
	v_fma_f64 v[6:7], v[6:7], v[8:9], v[6:7]
	v_div_scale_f64 v[8:9], vcc, v[0:1], v[2:3], v[0:1]
	v_mul_f64 v[10:11], v[8:9], v[6:7]
	v_fma_f64 v[4:5], -v[4:5], v[10:11], v[8:9]
	s_nop 1
	v_div_fmas_f64 v[4:5], v[4:5], v[6:7], v[10:11]
	v_div_fixup_f64 v[6:7], v[4:5], v[2:3], v[0:1]
	v_div_scale_f64 v[0:1], s[0:1], v[2:3], v[2:3], -1.0
	s_mov_b32 s0, 0xe2308c3a
	s_mov_b32 s1, 0x3e45798e
	v_rcp_f64_e32 v[4:5], v[0:1]
	v_fma_f64 v[8:9], -v[0:1], v[4:5], 1.0
	v_fma_f64 v[4:5], v[4:5], v[8:9], v[4:5]
	v_fma_f64 v[8:9], -v[0:1], v[4:5], 1.0
	v_fma_f64 v[4:5], v[4:5], v[8:9], v[4:5]
	v_div_scale_f64 v[8:9], vcc, -1.0, v[2:3], -1.0
	v_mul_f64 v[10:11], v[8:9], v[4:5]
	v_fma_f64 v[0:1], -v[0:1], v[10:11], v[8:9]
	s_nop 1
	v_div_fmas_f64 v[0:1], v[0:1], v[4:5], v[10:11]
                                        ; implicit-def: $vgpr4_vgpr5
	v_div_fixup_f64 v[2:3], v[0:1], v[2:3], -1.0
	v_cmp_ngt_f64_e64 s[0:1], |v[2:3]|, s[0:1]
	s_and_saveexec_b64 s[2:3], s[0:1]
	s_xor_b64 s[0:1], exec, s[2:3]
; %bb.50:
	v_mul_f64 v[4:5], s[16:17], v[6:7]
                                        ; implicit-def: $vgpr2_vgpr3
                                        ; implicit-def: $vgpr6_vgpr7
; %bb.51:
	s_andn2_saveexec_b64 s[2:3], s[0:1]
	s_cbranch_execz .LBB0_53
; %bb.52:
	v_mul_f64 v[0:1], s[16:17], v[2:3]
	s_mov_b32 s0, 0x652b82fe
	s_mov_b32 s1, 0x3ff71547
	v_mov_b32_e32 v10, 0xfca7ab0c
	v_mov_b32_e32 v11, 0x3e928af3
	s_mov_b32 s4, 0
	s_mov_b32 s5, 0xc090cc00
	v_mul_f64 v[4:5], v[0:1], s[0:1]
	s_mov_b32 s0, 0xfefa39ef
	s_mov_b32 s1, 0xbfe62e42
	v_rndne_f64_e32 v[4:5], v[4:5]
	v_fma_f64 v[8:9], v[4:5], s[0:1], v[0:1]
	s_mov_b32 s0, 0x3b39803f
	s_mov_b32 s1, 0xbc7abc9e
	v_fma_f64 v[8:9], v[4:5], s[0:1], v[8:9]
	s_mov_b32 s0, 0x6a5dcb37
	s_mov_b32 s1, 0x3e5ade15
	v_cvt_i32_f64_e32 v4, v[4:5]
	v_fma_f64 v[10:11], v[8:9], s[0:1], v[10:11]
	s_mov_b32 s0, 0x623fde64
	s_mov_b32 s1, 0x3ec71dee
	v_fma_f64 v[10:11], v[8:9], v[10:11], s[0:1]
	s_mov_b32 s0, 0x7c89e6b0
	s_mov_b32 s1, 0x3efa0199
	;; [unrolled: 3-line block ×9, first 2 shown]
	v_cmp_nlt_f64_e32 vcc, s[0:1], v[0:1]
	v_cmp_ngt_f64_e64 s[0:1], s[4:5], v[0:1]
	v_fma_f64 v[10:11], v[8:9], v[10:11], 1.0
	v_fma_f64 v[8:9], v[8:9], v[10:11], 1.0
	v_ldexp_f64 v[4:5], v[8:9], v4
	v_mov_b32_e32 v8, 0x7ff00000
	v_mov_b32_e32 v9, 0xbff00000
	v_add_f64 v[4:5], v[4:5], -1.0
	v_cndmask_b32_e32 v5, v8, v5, vcc
	s_and_b64 vcc, s[0:1], vcc
	v_cndmask_b32_e64 v1, v9, v5, s[0:1]
	v_cndmask_b32_e32 v0, 0, v4, vcc
	v_mul_f64 v[0:1], v[6:7], v[0:1]
	v_div_scale_f64 v[4:5], s[0:1], v[2:3], v[2:3], v[0:1]
	v_div_scale_f64 v[10:11], vcc, v[0:1], v[2:3], v[0:1]
	v_rcp_f64_e32 v[6:7], v[4:5]
	v_fma_f64 v[8:9], -v[4:5], v[6:7], 1.0
	v_fma_f64 v[6:7], v[6:7], v[8:9], v[6:7]
	v_fma_f64 v[8:9], -v[4:5], v[6:7], 1.0
	v_fma_f64 v[6:7], v[6:7], v[8:9], v[6:7]
	v_mul_f64 v[8:9], v[10:11], v[6:7]
	v_fma_f64 v[4:5], -v[4:5], v[8:9], v[10:11]
	v_div_fmas_f64 v[4:5], v[4:5], v[6:7], v[8:9]
	v_div_fixup_f64 v[4:5], v[4:5], v[2:3], v[0:1]
.LBB0_53:
	s_or_b64 exec, exec, s[2:3]
	buffer_load_dword v0, off, s[56:59], 0  ; 4-byte Folded Reload
	buffer_load_dword v1, off, s[56:59], 0 offset:4 ; 4-byte Folded Reload
	s_mov_b32 s0, 0xaaaaaaab
	s_mov_b32 s1, 0x400aaaaa
	;; [unrolled: 1-line block ×28, first 2 shown]
	s_waitcnt vmcnt(0)
	v_add_f64 v[0:1], v[0:1], v[4:5]
	global_store_dwordx2 v[36:37], v[0:1], off
	v_add_f64 v[0:1], -v[46:47], s[0:1]
	s_mov_b32 s0, 0xfca7ab0c
	s_mov_b32 s1, 0x3e928af3
	v_mov_b32_e32 v7, s1
	v_mov_b32_e32 v6, s0
	v_mul_f64 v[2:3], v[0:1], s[2:3]
	v_rndne_f64_e32 v[2:3], v[2:3]
	v_fma_f64 v[4:5], v[2:3], s[4:5], v[0:1]
	v_fma_f64 v[4:5], v[2:3], s[6:7], v[4:5]
	v_cvt_i32_f64_e32 v2, v[2:3]
	v_fma_f64 v[8:9], v[4:5], s[8:9], v[6:7]
	v_fma_f64 v[8:9], v[4:5], v[8:9], s[10:11]
	;; [unrolled: 1-line block ×9, first 2 shown]
	v_fma_f64 v[8:9], v[4:5], v[8:9], 1.0
	v_fma_f64 v[4:5], v[4:5], v[8:9], 1.0
	v_ldexp_f64 v[2:3], v[4:5], v2
	v_add_f64 v[2:3], v[2:3], 1.0
	v_div_scale_f64 v[4:5], s[0:1], v[2:3], v[2:3], 1.0
	v_cmp_ngt_f64_e64 s[0:1], s[20:21], v[0:1]
	v_rcp_f64_e32 v[8:9], v[4:5]
	v_fma_f64 v[10:11], -v[4:5], v[8:9], 1.0
	v_fma_f64 v[8:9], v[8:9], v[10:11], v[8:9]
	v_fma_f64 v[10:11], -v[4:5], v[8:9], 1.0
	v_fma_f64 v[8:9], v[8:9], v[10:11], v[8:9]
	v_div_scale_f64 v[10:11], vcc, 1.0, v[2:3], 1.0
	v_mul_f64 v[12:13], v[10:11], v[8:9]
	v_fma_f64 v[4:5], -v[4:5], v[12:13], v[10:11]
	s_nop 1
	v_div_fmas_f64 v[4:5], v[4:5], v[8:9], v[12:13]
	v_cmp_nlt_f64_e32 vcc, s[30:31], v[0:1]
	v_mov_b32_e32 v0, 0x3ff00000
	v_div_fixup_f64 v[2:3], v[4:5], v[2:3], 1.0
	v_cndmask_b32_e32 v3, 0, v3, vcc
	s_and_b64 vcc, s[0:1], vcc
	v_cndmask_b32_e64 v9, v0, v3, s[0:1]
	s_mov_b32 s0, 0
	s_mov_b32 s1, 0x40440000
	v_add_f64 v[0:1], v[30:31], s[0:1]
	s_mov_b32 s0, 0
	s_mov_b32 s1, 0xc09c2000
	v_cndmask_b32_e32 v8, 0, v2, vcc
	v_mul_f64 v[0:1], v[0:1], v[0:1]
	v_div_scale_f64 v[2:3], s[36:37], s[0:1], s[0:1], v[0:1]
	v_rcp_f64_e32 v[4:5], v[2:3]
	v_fma_f64 v[10:11], -v[2:3], v[4:5], 1.0
	v_fma_f64 v[4:5], v[4:5], v[10:11], v[4:5]
	v_fma_f64 v[10:11], -v[2:3], v[4:5], 1.0
	v_fma_f64 v[4:5], v[4:5], v[10:11], v[4:5]
	v_div_scale_f64 v[10:11], vcc, v[0:1], s[0:1], v[0:1]
	v_mul_f64 v[12:13], v[10:11], v[4:5]
	v_fma_f64 v[2:3], -v[2:3], v[12:13], v[10:11]
	s_nop 1
	v_div_fmas_f64 v[2:3], v[2:3], v[4:5], v[12:13]
	v_div_fixup_f64 v[0:1], v[2:3], s[0:1], v[0:1]
	s_mov_b32 s0, 0
	s_mov_b32 s1, 0x40230000
	v_mul_f64 v[2:3], v[0:1], s[2:3]
	v_cmp_nlt_f64_e32 vcc, s[30:31], v[0:1]
	v_rndne_f64_e32 v[2:3], v[2:3]
	v_fma_f64 v[4:5], v[2:3], s[4:5], v[0:1]
	v_fma_f64 v[4:5], v[2:3], s[6:7], v[4:5]
	v_cvt_i32_f64_e32 v2, v[2:3]
	v_fma_f64 v[6:7], v[4:5], s[8:9], v[6:7]
	v_fma_f64 v[6:7], v[4:5], v[6:7], s[10:11]
	;; [unrolled: 1-line block ×9, first 2 shown]
	v_fma_f64 v[6:7], v[4:5], v[6:7], 1.0
	v_fma_f64 v[4:5], v[4:5], v[6:7], 1.0
	v_mov_b32_e32 v6, 0x7ff00000
	v_ldexp_f64 v[2:3], v[4:5], v2
	v_mov_b32_e32 v4, 0x9999999a
	v_mov_b32_e32 v5, 0x3fe99999
	v_fma_f64 v[2:3], v[2:3], s[0:1], v[4:5]
	v_cndmask_b32_e32 v2, 0, v2, vcc
	v_cndmask_b32_e32 v3, v6, v3, vcc
	v_cmp_ngt_f64_e32 vcc, s[20:21], v[0:1]
	v_cndmask_b32_e32 v1, v5, v3, vcc
	v_cndmask_b32_e32 v0, v4, v2, vcc
	v_add_f64 v[2:3], v[8:9], -v[26:27]
	v_div_scale_f64 v[4:5], s[0:1], v[0:1], v[0:1], v[2:3]
	v_rcp_f64_e32 v[6:7], v[4:5]
	v_fma_f64 v[8:9], -v[4:5], v[6:7], 1.0
	v_fma_f64 v[6:7], v[6:7], v[8:9], v[6:7]
	v_fma_f64 v[8:9], -v[4:5], v[6:7], 1.0
	v_fma_f64 v[6:7], v[6:7], v[8:9], v[6:7]
	v_div_scale_f64 v[8:9], vcc, v[2:3], v[0:1], v[2:3]
	v_mul_f64 v[10:11], v[8:9], v[6:7]
	v_fma_f64 v[4:5], -v[4:5], v[10:11], v[8:9]
	s_nop 1
	v_div_fmas_f64 v[4:5], v[4:5], v[6:7], v[10:11]
	v_div_fixup_f64 v[8:9], v[4:5], v[0:1], v[2:3]
	v_div_scale_f64 v[2:3], s[0:1], v[0:1], v[0:1], -1.0
	s_mov_b32 s0, 0xe2308c3a
	s_mov_b32 s1, 0x3e45798e
	v_rcp_f64_e32 v[4:5], v[2:3]
	v_fma_f64 v[6:7], -v[2:3], v[4:5], 1.0
	v_fma_f64 v[4:5], v[4:5], v[6:7], v[4:5]
	v_fma_f64 v[6:7], -v[2:3], v[4:5], 1.0
	v_fma_f64 v[4:5], v[4:5], v[6:7], v[4:5]
	v_div_scale_f64 v[6:7], vcc, -1.0, v[0:1], -1.0
	v_mul_f64 v[10:11], v[6:7], v[4:5]
	v_fma_f64 v[2:3], -v[2:3], v[10:11], v[6:7]
                                        ; implicit-def: $vgpr6_vgpr7
	s_nop 1
	v_div_fmas_f64 v[2:3], v[2:3], v[4:5], v[10:11]
	v_div_fixup_f64 v[2:3], v[2:3], v[0:1], -1.0
	v_cmp_ngt_f64_e64 s[0:1], |v[2:3]|, s[0:1]
	s_and_saveexec_b64 s[2:3], s[0:1]
	s_xor_b64 s[0:1], exec, s[2:3]
; %bb.54:
	v_mul_f64 v[6:7], s[16:17], v[8:9]
                                        ; implicit-def: $vgpr2_vgpr3
                                        ; implicit-def: $vgpr8_vgpr9
; %bb.55:
	s_or_saveexec_b64 s[2:3], s[0:1]
	buffer_store_dword v28, off, s[56:59], 0 offset:144 ; 4-byte Folded Spill
	s_nop 0
	buffer_store_dword v29, off, s[56:59], 0 offset:148 ; 4-byte Folded Spill
	s_xor_b64 exec, exec, s[2:3]
	s_cbranch_execz .LBB0_57
; %bb.56:
	v_mul_f64 v[0:1], s[16:17], v[2:3]
	s_mov_b32 s0, 0x652b82fe
	s_mov_b32 s1, 0x3ff71547
	v_mov_b32_e32 v10, 0xfca7ab0c
	v_mov_b32_e32 v11, 0x3e928af3
	s_mov_b32 s4, 0
	s_mov_b32 s5, 0xc090cc00
	v_mul_f64 v[4:5], v[0:1], s[0:1]
	s_mov_b32 s0, 0xfefa39ef
	s_mov_b32 s1, 0xbfe62e42
	v_rndne_f64_e32 v[4:5], v[4:5]
	v_fma_f64 v[6:7], v[4:5], s[0:1], v[0:1]
	s_mov_b32 s0, 0x3b39803f
	s_mov_b32 s1, 0xbc7abc9e
	v_fma_f64 v[6:7], v[4:5], s[0:1], v[6:7]
	s_mov_b32 s0, 0x6a5dcb37
	s_mov_b32 s1, 0x3e5ade15
	v_cvt_i32_f64_e32 v4, v[4:5]
	v_fma_f64 v[10:11], v[6:7], s[0:1], v[10:11]
	s_mov_b32 s0, 0x623fde64
	s_mov_b32 s1, 0x3ec71dee
	v_fma_f64 v[10:11], v[6:7], v[10:11], s[0:1]
	s_mov_b32 s0, 0x7c89e6b0
	s_mov_b32 s1, 0x3efa0199
	;; [unrolled: 3-line block ×9, first 2 shown]
	v_cmp_nlt_f64_e32 vcc, s[0:1], v[0:1]
	v_cmp_ngt_f64_e64 s[0:1], s[4:5], v[0:1]
	v_fma_f64 v[10:11], v[6:7], v[10:11], 1.0
	v_fma_f64 v[6:7], v[6:7], v[10:11], 1.0
	v_ldexp_f64 v[4:5], v[6:7], v4
	v_mov_b32_e32 v6, 0x7ff00000
	v_mov_b32_e32 v7, 0xbff00000
	v_add_f64 v[4:5], v[4:5], -1.0
	v_cndmask_b32_e32 v5, v6, v5, vcc
	s_and_b64 vcc, s[0:1], vcc
	v_cndmask_b32_e64 v1, v7, v5, s[0:1]
	v_cndmask_b32_e32 v0, 0, v4, vcc
	v_mul_f64 v[0:1], v[8:9], v[0:1]
	v_div_scale_f64 v[4:5], s[0:1], v[2:3], v[2:3], v[0:1]
	v_div_scale_f64 v[10:11], vcc, v[0:1], v[2:3], v[0:1]
	v_rcp_f64_e32 v[6:7], v[4:5]
	v_fma_f64 v[8:9], -v[4:5], v[6:7], 1.0
	v_fma_f64 v[6:7], v[6:7], v[8:9], v[6:7]
	v_fma_f64 v[8:9], -v[4:5], v[6:7], 1.0
	v_fma_f64 v[6:7], v[6:7], v[8:9], v[6:7]
	v_mul_f64 v[8:9], v[10:11], v[6:7]
	v_fma_f64 v[4:5], -v[4:5], v[8:9], v[10:11]
	v_div_fmas_f64 v[4:5], v[4:5], v[6:7], v[8:9]
	v_div_fixup_f64 v[6:7], v[4:5], v[2:3], v[0:1]
.LBB0_57:
	s_or_b64 exec, exec, s[2:3]
	buffer_load_dword v0, off, s[56:59], 0 offset:152 ; 4-byte Folded Reload
	buffer_load_dword v1, off, s[56:59], 0 offset:156 ; 4-byte Folded Reload
	;; [unrolled: 1-line block ×4, first 2 shown]
	s_mov_b32 s2, 0xbf559e2b
	s_mov_b32 s3, 0x3fc3ab76
	;; [unrolled: 1-line block ×16, first 2 shown]
	v_mov_b32_e32 v43, v41
	v_mov_b32_e32 v42, v40
	s_waitcnt vmcnt(0)
	v_mul_f64 v[28:29], v[0:1], v[2:3]
	v_mul_f64 v[0:1], v[0:1], 0.5
	v_mul_f64 v[12:13], v[0:1], v[2:3]
	buffer_store_dword v12, off, s[56:59], 0 offset:712 ; 4-byte Folded Spill
	s_nop 0
	buffer_store_dword v13, off, s[56:59], 0 offset:716 ; 4-byte Folded Spill
	buffer_load_dword v24, off, s[56:59], 0 offset:56 ; 4-byte Folded Reload
	buffer_load_dword v25, off, s[56:59], 0 offset:60 ; 4-byte Folded Reload
	buffer_load_dword v48, off, s[56:59], 0 offset:136 ; 4-byte Folded Reload
	buffer_load_dword v49, off, s[56:59], 0 offset:140 ; 4-byte Folded Reload
	buffer_load_dword v20, off, s[56:59], 0 offset:16 ; 4-byte Folded Reload
	buffer_load_dword v21, off, s[56:59], 0 offset:20 ; 4-byte Folded Reload
	s_waitcnt vmcnt(2)
	v_div_scale_f64 v[0:1], s[0:1], v[48:49], v[48:49], v[24:25]
	s_mov_b32 s1, 0x3fe55555
	s_mov_b32 s0, 0x55555555
	s_waitcnt vmcnt(0)
	v_add_f64 v[52:53], v[20:21], v[20:21]
	v_rcp_f64_e32 v[2:3], v[0:1]
	v_fma_f64 v[4:5], -v[0:1], v[2:3], 1.0
	v_fma_f64 v[2:3], v[2:3], v[4:5], v[2:3]
	v_fma_f64 v[4:5], -v[0:1], v[2:3], 1.0
	v_fma_f64 v[2:3], v[2:3], v[4:5], v[2:3]
	v_div_scale_f64 v[4:5], vcc, v[24:25], v[48:49], v[24:25]
	v_mul_f64 v[8:9], v[4:5], v[2:3]
	v_fma_f64 v[0:1], -v[0:1], v[8:9], v[4:5]
	s_nop 1
	v_div_fmas_f64 v[0:1], v[0:1], v[2:3], v[8:9]
	v_div_fixup_f64 v[8:9], v[0:1], v[48:49], v[24:25]
	v_frexp_mant_f64_e32 v[0:1], v[8:9]
	v_frexp_exp_i32_f64_e32 v2, v[8:9]
	v_cmp_gt_f64_e32 vcc, s[0:1], v[0:1]
	s_mov_b32 s0, 0x55555780
	v_cndmask_b32_e64 v3, 0, 1, vcc
	v_ldexp_f64 v[0:1], v[0:1], v3
	v_subbrev_co_u32_e32 v22, vcc, 0, v2, vcc
	v_add_f64 v[4:5], v[0:1], 1.0
	v_add_f64 v[2:3], v[0:1], -1.0
	v_add_f64 v[10:11], v[4:5], -1.0
	v_add_f64 v[0:1], v[0:1], -v[10:11]
	v_rcp_f64_e32 v[10:11], v[4:5]
	v_fma_f64 v[14:15], -v[4:5], v[10:11], 1.0
	v_fma_f64 v[10:11], v[14:15], v[10:11], v[10:11]
	v_fma_f64 v[14:15], -v[4:5], v[10:11], 1.0
	v_fma_f64 v[10:11], v[14:15], v[10:11], v[10:11]
	v_mul_f64 v[14:15], v[2:3], v[10:11]
	v_mul_f64 v[16:17], v[4:5], v[14:15]
	v_fma_f64 v[4:5], v[14:15], v[4:5], -v[16:17]
	v_fma_f64 v[0:1], v[14:15], v[0:1], v[4:5]
	v_add_f64 v[4:5], v[16:17], v[0:1]
	v_add_f64 v[18:19], v[2:3], -v[4:5]
	v_add_f64 v[16:17], v[4:5], -v[16:17]
	;; [unrolled: 1-line block ×5, first 2 shown]
	v_add_f64 v[0:1], v[0:1], v[2:3]
	v_add_f64 v[0:1], v[18:19], v[0:1]
	v_mul_f64 v[0:1], v[10:11], v[0:1]
	v_mov_b32_e32 v10, 0x6b47b09a
	v_mov_b32_e32 v11, 0x3fc38538
	v_add_f64 v[2:3], v[14:15], v[0:1]
	v_add_f64 v[4:5], v[2:3], -v[14:15]
	v_ldexp_f64 v[14:15], v[2:3], 1
	v_add_f64 v[0:1], v[0:1], -v[4:5]
	v_mul_f64 v[4:5], v[2:3], v[2:3]
	v_ldexp_f64 v[0:1], v[0:1], 1
	v_fma_f64 v[10:11], v[4:5], s[2:3], v[10:11]
	s_mov_b32 s2, 0xd7f4df2e
	s_mov_b32 s3, 0x3fc7474d
	v_mul_f64 v[2:3], v[2:3], v[4:5]
	v_fma_f64 v[10:11], v[4:5], v[10:11], s[2:3]
	s_mov_b32 s2, 0x16291751
	s_mov_b32 s3, 0x3fcc71c0
	v_fma_f64 v[10:11], v[4:5], v[10:11], s[2:3]
	s_mov_b32 s2, 0x9b27acf1
	s_mov_b32 s3, 0x3fd24924
	;; [unrolled: 3-line block ×4, first 2 shown]
	v_fma_f64 v[10:11], v[4:5], v[10:11], s[0:1]
	s_movk_i32 s0, 0x204
	v_cmp_class_f64_e64 vcc, v[8:9], s0
	v_mul_f64 v[2:3], v[2:3], v[10:11]
	v_add_f64 v[4:5], v[14:15], v[2:3]
	v_add_f64 v[10:11], v[4:5], -v[14:15]
	v_add_f64 v[2:3], v[2:3], -v[10:11]
	v_add_f64 v[0:1], v[0:1], v[2:3]
	v_add_f64 v[14:15], v[4:5], v[0:1]
	v_add_f64 v[2:3], v[14:15], -v[4:5]
	v_add_f64 v[10:11], v[0:1], -v[2:3]
	v_cvt_f64_i32_e32 v[2:3], v22
	v_mul_f64 v[0:1], v[2:3], s[2:3]
	v_fma_f64 v[4:5], v[2:3], s[2:3], -v[0:1]
	s_mov_b32 s3, 0xbfe62e42
	v_fma_f64 v[2:3], v[2:3], s[4:5], v[4:5]
	s_mov_b32 s5, 0xbc7abc9e
	v_add_f64 v[4:5], v[0:1], v[2:3]
	v_add_f64 v[0:1], v[4:5], -v[0:1]
	v_add_f64 v[0:1], v[2:3], -v[0:1]
	v_add_f64 v[2:3], v[4:5], v[14:15]
	v_add_f64 v[16:17], v[2:3], -v[4:5]
	v_add_f64 v[18:19], v[2:3], -v[16:17]
	;; [unrolled: 1-line block ×4, first 2 shown]
	v_add_f64 v[4:5], v[14:15], v[4:5]
	v_add_f64 v[14:15], v[0:1], v[10:11]
	v_add_f64 v[16:17], v[14:15], -v[0:1]
	v_add_f64 v[4:5], v[14:15], v[4:5]
	v_add_f64 v[18:19], v[14:15], -v[16:17]
	v_add_f64 v[10:11], v[10:11], -v[16:17]
	;; [unrolled: 1-line block ×3, first 2 shown]
	v_add_f64 v[0:1], v[10:11], v[0:1]
	v_add_f64 v[10:11], v[2:3], v[4:5]
	v_add_f64 v[2:3], v[10:11], -v[2:3]
	v_add_f64 v[2:3], v[4:5], -v[2:3]
	v_add_f64 v[0:1], v[0:1], v[2:3]
	v_mov_b32_e32 v2, 0xfff80000
	v_add_f64 v[0:1], v[10:11], v[0:1]
	v_cndmask_b32_e32 v0, v0, v8, vcc
	v_cndmask_b32_e64 v1, -v1, -v9, vcc
	v_cmp_ngt_f64_e32 vcc, 0, v[8:9]
	v_cndmask_b32_e32 v1, v2, v1, vcc
	v_cmp_nge_f64_e32 vcc, 0, v[8:9]
	v_mov_b32_e32 v2, 0x7ff00000
	v_cndmask_b32_e32 v0, 0, v0, vcc
	v_cmp_neq_f64_e32 vcc, 0, v[8:9]
	v_cndmask_b32_e32 v1, v2, v1, vcc
	v_mul_f64 v[0:1], v[12:13], v[0:1]
	v_mul_f64 v[12:13], v[48:49], v[48:49]
	v_div_scale_f64 v[3:4], s[0:1], v[20:21], v[20:21], v[0:1]
	v_rcp_f64_e32 v[8:9], v[3:4]
	v_fma_f64 v[10:11], -v[3:4], v[8:9], 1.0
	v_fma_f64 v[8:9], v[8:9], v[10:11], v[8:9]
	v_fma_f64 v[10:11], -v[3:4], v[8:9], 1.0
	v_fma_f64 v[8:9], v[8:9], v[10:11], v[8:9]
	v_div_scale_f64 v[10:11], vcc, v[0:1], v[20:21], v[0:1]
	v_mul_f64 v[14:15], v[10:11], v[8:9]
	v_fma_f64 v[3:4], -v[3:4], v[14:15], v[10:11]
	s_nop 1
	v_div_fmas_f64 v[3:4], v[3:4], v[8:9], v[14:15]
	v_div_fixup_f64 v[0:1], v[3:4], v[20:21], v[0:1]
	buffer_load_dword v3, off, s[56:59], 0 offset:112 ; 4-byte Folded Reload
	buffer_load_dword v4, off, s[56:59], 0 offset:116 ; 4-byte Folded Reload
	s_nop 0
	buffer_store_dword v26, off, s[56:59], 0 offset:280 ; 4-byte Folded Spill
	s_nop 0
	buffer_store_dword v27, off, s[56:59], 0 offset:284 ; 4-byte Folded Spill
	v_add_f64 v[0:1], v[30:31], v[0:1]
	s_waitcnt vmcnt(2)
	v_mul_f64 v[56:57], v[3:4], v[0:1]
	v_add_f64 v[0:1], v[26:27], v[6:7]
	global_store_dwordx2 v[34:35], v[0:1], off
	buffer_load_dword v0, off, s[56:59], 0 offset:40 ; 4-byte Folded Reload
	s_nop 0
	buffer_load_dword v1, off, s[56:59], 0 offset:44 ; 4-byte Folded Reload
	s_waitcnt vmcnt(0)
	v_mul_f64 v[3:4], v[0:1], v[0:1]
	buffer_store_dword v3, off, s[56:59], 0 offset:688 ; 4-byte Folded Spill
	s_nop 0
	buffer_store_dword v4, off, s[56:59], 0 offset:692 ; 4-byte Folded Spill
	v_mul_f64 v[0:1], v[0:1], v[3:4]
	buffer_store_dword v0, off, s[56:59], 0 offset:616 ; 4-byte Folded Spill
	s_nop 0
	buffer_store_dword v1, off, s[56:59], 0 offset:620 ; 4-byte Folded Spill
	buffer_load_dword v18, off, s[56:59], 0 offset:264 ; 4-byte Folded Reload
	buffer_load_dword v19, off, s[56:59], 0 offset:268 ; 4-byte Folded Reload
	v_mul_f64 v[6:7], v[0:1], v[24:25]
	s_waitcnt vmcnt(0)
	v_mul_f64 v[0:1], v[18:19], v[20:21]
	v_mul_f64 v[0:1], v[30:31], v[0:1]
	v_div_scale_f64 v[3:4], s[0:1], v[28:29], v[28:29], v[0:1]
	s_mov_b32 s0, 0xfca7ab0c
	s_mov_b32 s1, 0x3e928af3
	v_rcp_f64_e32 v[8:9], v[3:4]
	v_fma_f64 v[14:15], -v[3:4], v[8:9], 1.0
	v_fma_f64 v[8:9], v[8:9], v[14:15], v[8:9]
	v_fma_f64 v[14:15], -v[3:4], v[8:9], 1.0
	v_fma_f64 v[8:9], v[8:9], v[14:15], v[8:9]
	v_div_scale_f64 v[14:15], vcc, v[0:1], v[28:29], v[0:1]
	v_mul_f64 v[16:17], v[14:15], v[8:9]
	v_fma_f64 v[3:4], -v[3:4], v[16:17], v[14:15]
	s_nop 1
	v_div_fmas_f64 v[3:4], v[3:4], v[8:9], v[16:17]
	v_div_fixup_f64 v[0:1], v[3:4], v[28:29], v[0:1]
	v_mul_f64 v[3:4], v[0:1], s[6:7]
	v_cmp_nlt_f64_e32 vcc, s[26:27], v[0:1]
	v_rndne_f64_e32 v[3:4], v[3:4]
	v_fma_f64 v[8:9], v[3:4], s[2:3], v[0:1]
	v_fma_f64 v[14:15], v[3:4], s[4:5], v[8:9]
	v_mov_b32_e32 v9, s1
	v_mov_b32_e32 v8, s0
	v_cvt_i32_f64_e32 v3, v[3:4]
	v_cmp_ngt_f64_e64 s[0:1], s[30:31], v[0:1]
	v_fma_f64 v[16:17], v[14:15], s[8:9], v[8:9]
	v_fma_f64 v[16:17], v[14:15], v[16:17], s[10:11]
	;; [unrolled: 1-line block ×9, first 2 shown]
	v_fma_f64 v[16:17], v[14:15], v[16:17], 1.0
	v_fma_f64 v[14:15], v[14:15], v[16:17], 1.0
	v_ldexp_f64 v[3:4], v[14:15], v3
	v_cndmask_b32_e32 v4, v2, v4, vcc
	s_and_b64 vcc, s[0:1], vcc
	v_cndmask_b32_e32 v10, 0, v3, vcc
	v_cndmask_b32_e64 v11, 0, v4, s[0:1]
	buffer_load_dword v3, off, s[56:59], 0 offset:176 ; 4-byte Folded Reload
	buffer_load_dword v4, off, s[56:59], 0 offset:180 ; 4-byte Folded Reload
	s_waitcnt vmcnt(0)
	v_mul_f64 v[0:1], v[3:4], v[3:4]
	v_mul_f64 v[36:37], v[3:4], v[0:1]
	buffer_load_dword v0, off, s[56:59], 0 offset:128 ; 4-byte Folded Reload
	buffer_load_dword v1, off, s[56:59], 0 offset:132 ; 4-byte Folded Reload
	s_waitcnt vmcnt(0)
	v_mul_f64 v[0:1], v[0:1], v[36:37]
	v_mul_f64 v[26:27], v[48:49], v[0:1]
	v_add_f64 v[0:1], v[18:19], -1.0
	buffer_store_dword v0, off, s[56:59], 0 offset:624 ; 4-byte Folded Spill
	s_nop 0
	buffer_store_dword v1, off, s[56:59], 0 offset:628 ; 4-byte Folded Spill
	v_mul_f64 v[0:1], v[0:1], v[20:21]
	v_mul_f64 v[0:1], v[30:31], v[0:1]
	v_div_scale_f64 v[3:4], s[0:1], v[28:29], v[28:29], v[0:1]
	v_rcp_f64_e32 v[16:17], v[3:4]
	v_fma_f64 v[18:19], -v[3:4], v[16:17], 1.0
	v_fma_f64 v[16:17], v[16:17], v[18:19], v[16:17]
	v_fma_f64 v[18:19], -v[3:4], v[16:17], 1.0
	v_fma_f64 v[16:17], v[16:17], v[18:19], v[16:17]
	v_div_scale_f64 v[18:19], vcc, v[0:1], v[28:29], v[0:1]
	buffer_store_dword v28, off, s[56:59], 0 offset:224 ; 4-byte Folded Spill
	s_nop 0
	buffer_store_dword v29, off, s[56:59], 0 offset:228 ; 4-byte Folded Spill
	buffer_store_dword v10, off, s[56:59], 0 offset:352 ; 4-byte Folded Spill
	s_nop 0
	buffer_store_dword v11, off, s[56:59], 0 offset:356 ; 4-byte Folded Spill
	buffer_load_dword v60, off, s[56:59], 0 offset:120 ; 4-byte Folded Reload
	buffer_load_dword v61, off, s[56:59], 0 offset:124 ; 4-byte Folded Reload
	v_mul_f64 v[22:23], v[18:19], v[16:17]
	v_fma_f64 v[3:4], -v[3:4], v[22:23], v[18:19]
	v_div_fmas_f64 v[3:4], v[3:4], v[16:17], v[22:23]
	v_div_fixup_f64 v[0:1], v[3:4], v[28:29], v[0:1]
	v_mul_f64 v[3:4], v[0:1], s[6:7]
	v_cmp_nlt_f64_e32 vcc, s[26:27], v[0:1]
	v_cmp_ngt_f64_e64 s[0:1], s[30:31], v[0:1]
	v_rndne_f64_e32 v[3:4], v[3:4]
	v_fma_f64 v[16:17], v[3:4], s[2:3], v[0:1]
	v_fma_f64 v[16:17], v[3:4], s[4:5], v[16:17]
	v_cvt_i32_f64_e32 v3, v[3:4]
	v_fma_f64 v[8:9], v[16:17], s[8:9], v[8:9]
	v_fma_f64 v[8:9], v[16:17], v[8:9], s[10:11]
	;; [unrolled: 1-line block ×9, first 2 shown]
	v_fma_f64 v[8:9], v[16:17], v[8:9], 1.0
	v_fma_f64 v[8:9], v[16:17], v[8:9], 1.0
	v_ldexp_f64 v[3:4], v[8:9], v3
	v_cndmask_b32_e32 v2, v2, v4, vcc
	s_and_b64 vcc, s[0:1], vcc
	v_cndmask_b32_e32 v14, 0, v3, vcc
	v_cndmask_b32_e64 v15, 0, v2, s[0:1]
	v_mul_f64 v[0:1], v[26:27], v[14:15]
	v_fma_f64 v[0:1], v[6:7], v[10:11], -v[0:1]
	buffer_store_dword v0, off, s[56:59], 0 offset:656 ; 4-byte Folded Spill
	s_nop 0
	buffer_store_dword v1, off, s[56:59], 0 offset:660 ; 4-byte Folded Spill
	s_waitcnt vmcnt(2)
	v_mul_f64 v[6:7], v[60:61], v[0:1]
	buffer_load_dword v0, off, s[56:59], 0 offset:256 ; 4-byte Folded Reload
	buffer_load_dword v1, off, s[56:59], 0 offset:260 ; 4-byte Folded Reload
	s_waitcnt vmcnt(0)
	v_fma_f64 v[2:3], v[0:1], v[14:15], 1.0
	buffer_load_dword v0, off, s[56:59], 0 offset:608 ; 4-byte Folded Reload
	buffer_load_dword v1, off, s[56:59], 0 offset:612 ; 4-byte Folded Reload
	s_waitcnt vmcnt(0)
	v_add_f64 v[0:1], v[0:1], v[24:25]
	buffer_store_dword v0, off, s[56:59], 0 offset:632 ; 4-byte Folded Spill
	s_nop 0
	buffer_store_dword v1, off, s[56:59], 0 offset:636 ; 4-byte Folded Spill
	buffer_store_dword v2, off, s[56:59], 0 offset:640 ; 4-byte Folded Spill
	s_nop 0
	buffer_store_dword v3, off, s[56:59], 0 offset:644 ; 4-byte Folded Spill
	v_mul_f64 v[8:9], v[0:1], v[2:3]
	buffer_load_dword v2, off, s[56:59], 0 offset:368 ; 4-byte Folded Reload
	buffer_load_dword v3, off, s[56:59], 0 offset:372 ; 4-byte Folded Reload
	s_waitcnt vmcnt(0)
	v_mul_f64 v[0:1], v[2:3], v[2:3]
	v_fma_f64 v[0:1], v[2:3], v[0:1], v[36:37]
	buffer_store_dword v0, off, s[56:59], 0 offset:664 ; 4-byte Folded Spill
	s_nop 0
	buffer_store_dword v1, off, s[56:59], 0 offset:668 ; 4-byte Folded Spill
	buffer_load_dword v44, off, s[56:59], 0 offset:384 ; 4-byte Folded Reload
	buffer_load_dword v45, off, s[56:59], 0 offset:388 ; 4-byte Folded Reload
	v_mul_f64 v[10:11], v[0:1], v[8:9]
	s_waitcnt vmcnt(0)
	v_mul_f64 v[22:23], v[48:49], v[44:45]
	v_div_scale_f64 v[0:1], s[0:1], v[10:11], v[10:11], v[6:7]
	v_rcp_f64_e32 v[2:3], v[0:1]
	v_fma_f64 v[4:5], -v[0:1], v[2:3], 1.0
	v_fma_f64 v[2:3], v[2:3], v[4:5], v[2:3]
	v_fma_f64 v[4:5], -v[0:1], v[2:3], 1.0
	v_fma_f64 v[2:3], v[2:3], v[4:5], v[2:3]
	v_div_scale_f64 v[4:5], vcc, v[6:7], v[10:11], v[6:7]
	v_mul_f64 v[8:9], v[4:5], v[2:3]
	v_fma_f64 v[0:1], -v[0:1], v[8:9], v[4:5]
	s_nop 1
	v_div_fmas_f64 v[0:1], v[0:1], v[2:3], v[8:9]
	v_div_fixup_f64 v[58:59], v[0:1], v[10:11], v[6:7]
	buffer_load_dword v0, off, s[56:59], 0 offset:344 ; 4-byte Folded Reload
	buffer_load_dword v1, off, s[56:59], 0 offset:348 ; 4-byte Folded Reload
	s_waitcnt vmcnt(0)
	v_add_f64 v[24:25], v[48:49], v[0:1]
	v_div_scale_f64 v[0:1], s[0:1], v[24:25], v[24:25], v[22:23]
	v_rcp_f64_e32 v[2:3], v[0:1]
	v_fma_f64 v[4:5], -v[0:1], v[2:3], 1.0
	v_fma_f64 v[2:3], v[2:3], v[4:5], v[2:3]
	v_fma_f64 v[4:5], -v[0:1], v[2:3], 1.0
	v_fma_f64 v[2:3], v[2:3], v[4:5], v[2:3]
	v_div_scale_f64 v[4:5], vcc, v[22:23], v[24:25], v[22:23]
	v_mul_f64 v[6:7], v[4:5], v[2:3]
	v_fma_f64 v[0:1], -v[0:1], v[6:7], v[4:5]
	s_nop 1
	v_div_fmas_f64 v[0:1], v[0:1], v[2:3], v[6:7]
	v_div_fixup_f64 v[54:55], v[0:1], v[24:25], v[22:23]
	buffer_load_dword v0, off, s[56:59], 0 offset:648 ; 4-byte Folded Reload
	buffer_load_dword v1, off, s[56:59], 0 offset:652 ; 4-byte Folded Reload
	s_nop 0
	buffer_store_dword v32, off, s[56:59], 0 offset:344 ; 4-byte Folded Spill
	s_nop 0
	buffer_store_dword v33, off, s[56:59], 0 offset:348 ; 4-byte Folded Spill
	v_add_f64 v[34:35], v[32:33], -v[48:49]
	s_waitcnt vmcnt(2)
	v_mul_f64 v[30:31], v[0:1], v[0:1]
	v_div_scale_f64 v[0:1], s[0:1], v[12:13], v[12:13], v[30:31]
	v_rcp_f64_e32 v[4:5], v[0:1]
	v_fma_f64 v[6:7], -v[0:1], v[4:5], 1.0
	v_fma_f64 v[4:5], v[4:5], v[6:7], v[4:5]
	v_fma_f64 v[6:7], -v[0:1], v[4:5], 1.0
	v_fma_f64 v[4:5], v[4:5], v[6:7], v[4:5]
	v_div_scale_f64 v[6:7], vcc, v[30:31], v[12:13], v[30:31]
	v_mul_f64 v[8:9], v[6:7], v[4:5]
	v_fma_f64 v[0:1], -v[0:1], v[8:9], v[6:7]
	s_nop 1
	v_div_fmas_f64 v[0:1], v[0:1], v[4:5], v[8:9]
	v_div_fixup_f64 v[0:1], v[0:1], v[12:13], v[30:31]
	v_add_f64 v[38:39], v[0:1], 1.0
	v_div_scale_f64 v[0:1], s[0:1], v[38:39], v[38:39], v[40:41]
	v_rcp_f64_e32 v[4:5], v[0:1]
	v_fma_f64 v[6:7], -v[0:1], v[4:5], 1.0
	v_fma_f64 v[4:5], v[4:5], v[6:7], v[4:5]
	v_fma_f64 v[6:7], -v[0:1], v[4:5], 1.0
	v_fma_f64 v[4:5], v[4:5], v[6:7], v[4:5]
	v_div_scale_f64 v[6:7], vcc, v[40:41], v[38:39], v[40:41]
	v_mul_f64 v[8:9], v[6:7], v[4:5]
	v_fma_f64 v[0:1], -v[0:1], v[8:9], v[6:7]
	s_nop 1
	v_div_fmas_f64 v[0:1], v[0:1], v[4:5], v[8:9]
	v_add_f64 v[4:5], v[48:49], v[62:63]
	v_mul_f64 v[32:33], v[4:5], v[4:5]
	v_div_fixup_f64 v[8:9], v[0:1], v[38:39], v[40:41]
	buffer_load_dword v0, off, s[56:59], 0 offset:144 ; 4-byte Folded Reload
	buffer_load_dword v1, off, s[56:59], 0 offset:148 ; 4-byte Folded Reload
	;; [unrolled: 1-line block ×6, first 2 shown]
	s_nop 0
	buffer_store_dword v8, off, s[56:59], 0 offset:720 ; 4-byte Folded Spill
	s_nop 0
	buffer_store_dword v9, off, s[56:59], 0 offset:724 ; 4-byte Folded Spill
	buffer_store_dword v34, off, s[56:59], 0 offset:728 ; 4-byte Folded Spill
	s_nop 0
	buffer_store_dword v35, off, s[56:59], 0 offset:732 ; 4-byte Folded Spill
	v_mul_f64 v[4:5], v[4:5], v[32:33]
	s_waitcnt vmcnt(8)
	v_add_f64 v[2:3], v[0:1], -v[48:49]
	s_waitcnt vmcnt(6)
	v_mul_f64 v[0:1], v[46:47], v[62:63]
	v_div_scale_f64 v[6:7], s[0:1], v[32:33], v[32:33], v[0:1]
	v_rcp_f64_e32 v[18:19], v[6:7]
	v_fma_f64 v[26:27], -v[6:7], v[18:19], 1.0
	v_fma_f64 v[18:19], v[18:19], v[26:27], v[18:19]
	v_fma_f64 v[26:27], -v[6:7], v[18:19], 1.0
	v_fma_f64 v[18:19], v[18:19], v[26:27], v[18:19]
	v_div_scale_f64 v[26:27], vcc, v[0:1], v[32:33], v[0:1]
	v_mul_f64 v[28:29], v[26:27], v[18:19]
	v_fma_f64 v[6:7], -v[6:7], v[28:29], v[26:27]
	s_nop 1
	v_div_fmas_f64 v[6:7], v[6:7], v[18:19], v[28:29]
	v_div_fixup_f64 v[0:1], v[6:7], v[32:33], v[0:1]
	v_add_f64 v[0:1], v[0:1], 1.0
	v_div_scale_f64 v[6:7], s[0:1], v[0:1], v[0:1], 1.0
	v_rcp_f64_e32 v[18:19], v[6:7]
	v_fma_f64 v[26:27], -v[6:7], v[18:19], 1.0
	v_fma_f64 v[18:19], v[18:19], v[26:27], v[18:19]
	v_fma_f64 v[26:27], -v[6:7], v[18:19], 1.0
	v_fma_f64 v[18:19], v[18:19], v[26:27], v[18:19]
	v_div_scale_f64 v[26:27], vcc, 1.0, v[0:1], 1.0
	v_mul_f64 v[28:29], v[26:27], v[18:19]
	v_fma_f64 v[6:7], -v[6:7], v[28:29], v[26:27]
	s_nop 1
	v_div_fmas_f64 v[6:7], v[6:7], v[18:19], v[28:29]
	v_div_fixup_f64 v[18:19], v[6:7], v[0:1], 1.0
	s_waitcnt vmcnt(4)
	v_fma_f64 v[6:7], v[34:35], v[16:17], -v[8:9]
	buffer_load_dword v8, off, s[56:59], 0 offset:312 ; 4-byte Folded Reload
	buffer_load_dword v9, off, s[56:59], 0 offset:316 ; 4-byte Folded Reload
	s_nop 0
	buffer_store_dword v56, off, s[56:59], 0 offset:672 ; 4-byte Folded Spill
	s_nop 0
	buffer_store_dword v57, off, s[56:59], 0 offset:676 ; 4-byte Folded Spill
	buffer_store_dword v58, off, s[56:59], 0 offset:368 ; 4-byte Folded Spill
	s_nop 0
	buffer_store_dword v59, off, s[56:59], 0 offset:372 ; 4-byte Folded Spill
	;; [unrolled: 3-line block ×3, first 2 shown]
	v_mul_f64 v[0:1], v[0:1], v[0:1]
	v_mul_f64 v[0:1], v[4:5], v[0:1]
	s_waitcnt vmcnt(6)
	v_mul_f64 v[6:7], v[8:9], v[6:7]
	v_div_scale_f64 v[26:27], s[0:1], v[50:51], v[50:51], v[6:7]
	v_rcp_f64_e32 v[28:29], v[26:27]
	v_fma_f64 v[34:35], -v[26:27], v[28:29], 1.0
	v_fma_f64 v[28:29], v[28:29], v[34:35], v[28:29]
	v_fma_f64 v[34:35], -v[26:27], v[28:29], 1.0
	v_fma_f64 v[28:29], v[28:29], v[34:35], v[28:29]
	v_div_scale_f64 v[34:35], vcc, v[6:7], v[50:51], v[6:7]
	v_mul_f64 v[40:41], v[34:35], v[28:29]
	v_fma_f64 v[26:27], -v[26:27], v[40:41], v[34:35]
	s_nop 1
	v_div_fmas_f64 v[26:27], v[26:27], v[28:29], v[40:41]
	v_div_fixup_f64 v[6:7], v[26:27], v[50:51], v[6:7]
	v_fma_f64 v[26:27], v[58:59], -2.0, v[56:57]
	buffer_load_dword v56, off, s[56:59], 0 offset:32 ; 4-byte Folded Reload
	buffer_load_dword v57, off, s[56:59], 0 offset:36 ; 4-byte Folded Reload
	s_nop 0
	buffer_store_dword v52, off, s[56:59], 0 offset:696 ; 4-byte Folded Spill
	s_nop 0
	buffer_store_dword v53, off, s[56:59], 0 offset:700 ; 4-byte Folded Spill
	v_add_f64 v[26:27], v[54:55], v[26:27]
	v_mul_f64 v[28:29], v[52:53], v[50:51]
	s_waitcnt vmcnt(2)
	v_mul_f64 v[26:27], v[56:57], v[26:27]
	v_div_scale_f64 v[34:35], s[0:1], v[28:29], v[28:29], v[26:27]
	v_rcp_f64_e32 v[40:41], v[34:35]
	v_fma_f64 v[52:53], -v[34:35], v[40:41], 1.0
	v_fma_f64 v[40:41], v[40:41], v[52:53], v[40:41]
	v_fma_f64 v[52:53], -v[34:35], v[40:41], 1.0
	v_fma_f64 v[40:41], v[40:41], v[52:53], v[40:41]
	v_div_scale_f64 v[52:53], vcc, v[26:27], v[28:29], v[26:27]
	v_mul_f64 v[54:55], v[52:53], v[40:41]
	v_fma_f64 v[34:35], -v[34:35], v[54:55], v[52:53]
	s_nop 1
	v_div_fmas_f64 v[34:35], v[34:35], v[40:41], v[54:55]
	buffer_load_dword v54, off, s[56:59], 0 offset:200 ; 4-byte Folded Reload
	buffer_load_dword v55, off, s[56:59], 0 offset:204 ; 4-byte Folded Reload
	s_nop 0
	buffer_store_dword v2, off, s[56:59], 0 offset:704 ; 4-byte Folded Spill
	s_nop 0
	buffer_store_dword v3, off, s[56:59], 0 offset:708 ; 4-byte Folded Spill
	v_div_fixup_f64 v[26:27], v[34:35], v[28:29], v[26:27]
	v_add_f64 v[34:35], v[46:47], v[46:47]
	v_add_f64 v[6:7], v[6:7], -v[26:27]
	v_mul_f64 v[34:35], v[34:35], v[62:63]
	v_div_scale_f64 v[4:5], s[0:1], v[0:1], v[0:1], v[34:35]
	v_rcp_f64_e32 v[32:33], v[4:5]
	v_fma_f64 v[40:41], -v[4:5], v[32:33], 1.0
	v_fma_f64 v[32:33], v[32:33], v[40:41], v[32:33]
	v_fma_f64 v[40:41], -v[4:5], v[32:33], 1.0
	s_waitcnt vmcnt(2)
	v_fma_f64 v[26:27], v[2:3], v[54:55], v[6:7]
	v_mul_f64 v[2:3], v[48:49], v[12:13]
	v_fma_f64 v[32:33], v[32:33], v[40:41], v[32:33]
	v_div_scale_f64 v[40:41], vcc, v[34:35], v[0:1], v[34:35]
	v_mul_f64 v[6:7], v[18:19], v[26:27]
	v_mul_f64 v[52:53], v[40:41], v[32:33]
	v_fma_f64 v[4:5], -v[4:5], v[52:53], v[40:41]
	s_nop 0
	v_div_fmas_f64 v[4:5], v[4:5], v[32:33], v[52:53]
	v_div_fixup_f64 v[32:33], v[4:5], v[0:1], v[34:35]
	buffer_load_dword v0, off, s[56:59], 0 offset:128 ; 4-byte Folded Reload
	buffer_load_dword v1, off, s[56:59], 0 offset:132 ; 4-byte Folded Reload
	s_nop 0
	buffer_store_dword v36, off, s[56:59], 0 offset:608 ; 4-byte Folded Spill
	s_nop 0
	buffer_store_dword v37, off, s[56:59], 0 offset:612 ; 4-byte Folded Spill
	buffer_store_dword v14, off, s[56:59], 0 offset:648 ; 4-byte Folded Spill
	s_nop 0
	buffer_store_dword v15, off, s[56:59], 0 offset:652 ; 4-byte Folded Spill
	s_waitcnt vmcnt(4)
	v_mul_f64 v[0:1], v[0:1], v[60:61]
	v_mul_f64 v[0:1], v[0:1], v[36:37]
	;; [unrolled: 1-line block ×3, first 2 shown]
	v_div_scale_f64 v[4:5], s[0:1], v[10:11], v[10:11], v[0:1]
	v_rcp_f64_e32 v[34:35], v[4:5]
	v_fma_f64 v[40:41], -v[4:5], v[34:35], 1.0
	v_fma_f64 v[34:35], v[34:35], v[40:41], v[34:35]
	v_fma_f64 v[40:41], -v[4:5], v[34:35], 1.0
	v_fma_f64 v[34:35], v[34:35], v[40:41], v[34:35]
	v_div_scale_f64 v[40:41], vcc, v[0:1], v[10:11], v[0:1]
	buffer_store_dword v10, off, s[56:59], 0 offset:360 ; 4-byte Folded Spill
	s_nop 0
	buffer_store_dword v11, off, s[56:59], 0 offset:364 ; 4-byte Folded Spill
	v_mul_f64 v[52:53], v[40:41], v[34:35]
	v_fma_f64 v[4:5], -v[4:5], v[52:53], v[40:41]
	v_div_fmas_f64 v[4:5], v[4:5], v[34:35], v[52:53]
	v_div_fixup_f64 v[0:1], v[4:5], v[10:11], v[0:1]
	v_add_f64 v[4:5], v[42:43], v[42:43]
	buffer_load_dword v10, off, s[56:59], 0 offset:712 ; 4-byte Folded Reload
	buffer_load_dword v11, off, s[56:59], 0 offset:716 ; 4-byte Folded Reload
	v_add_f64 v[0:1], v[0:1], v[0:1]
	v_mul_f64 v[4:5], v[30:31], v[4:5]
	v_mul_f64 v[30:31], v[38:39], v[38:39]
	;; [unrolled: 1-line block ×3, first 2 shown]
	v_div_scale_f64 v[30:31], s[0:1], v[2:3], v[2:3], v[4:5]
	v_rcp_f64_e32 v[34:35], v[30:31]
	v_fma_f64 v[36:37], -v[30:31], v[34:35], 1.0
	v_fma_f64 v[34:35], v[34:35], v[36:37], v[34:35]
	v_fma_f64 v[36:37], -v[30:31], v[34:35], 1.0
	v_fma_f64 v[34:35], v[34:35], v[36:37], v[34:35]
	v_div_scale_f64 v[36:37], vcc, v[4:5], v[2:3], v[4:5]
	v_mul_f64 v[38:39], v[36:37], v[34:35]
	v_fma_f64 v[30:31], -v[30:31], v[38:39], v[36:37]
	s_nop 1
	v_div_fmas_f64 v[30:31], v[30:31], v[34:35], v[38:39]
	v_div_fixup_f64 v[2:3], v[30:31], v[2:3], v[4:5]
	v_div_scale_f64 v[4:5], s[0:1], v[24:25], v[24:25], v[44:45]
	v_add_f64 v[2:3], -v[16:17], -v[2:3]
	v_mul_f64 v[2:3], v[8:9], v[2:3]
	v_rcp_f64_e32 v[30:31], v[4:5]
	v_fma_f64 v[34:35], -v[4:5], v[30:31], 1.0
	v_fma_f64 v[30:31], v[30:31], v[34:35], v[30:31]
	v_fma_f64 v[34:35], -v[4:5], v[30:31], 1.0
	v_fma_f64 v[30:31], v[30:31], v[34:35], v[30:31]
	v_div_scale_f64 v[34:35], vcc, v[44:45], v[24:25], v[44:45]
	v_mul_f64 v[36:37], v[34:35], v[30:31]
	v_fma_f64 v[4:5], -v[4:5], v[36:37], v[34:35]
	s_nop 1
	v_div_fmas_f64 v[4:5], v[4:5], v[30:31], v[36:37]
	v_div_fixup_f64 v[4:5], v[4:5], v[24:25], v[44:45]
	v_mul_f64 v[24:25], v[24:25], v[24:25]
	v_div_scale_f64 v[30:31], s[0:1], v[24:25], v[24:25], v[22:23]
	v_rcp_f64_e32 v[34:35], v[30:31]
	v_fma_f64 v[36:37], -v[30:31], v[34:35], 1.0
	v_fma_f64 v[34:35], v[34:35], v[36:37], v[34:35]
	v_fma_f64 v[36:37], -v[30:31], v[34:35], 1.0
	v_fma_f64 v[34:35], v[34:35], v[36:37], v[34:35]
	v_div_scale_f64 v[36:37], vcc, v[22:23], v[24:25], v[22:23]
	v_mul_f64 v[38:39], v[36:37], v[34:35]
	v_fma_f64 v[30:31], -v[30:31], v[38:39], v[36:37]
	s_nop 1
	v_div_fmas_f64 v[30:31], v[30:31], v[34:35], v[38:39]
	v_div_fixup_f64 v[22:23], v[30:31], v[24:25], v[22:23]
	v_add_f64 v[4:5], v[4:5], -v[22:23]
	v_mul_f64 v[22:23], v[48:49], v[20:21]
	s_waitcnt vmcnt(0)
	v_div_scale_f64 v[24:25], s[0:1], v[22:23], v[22:23], v[10:11]
	v_rcp_f64_e32 v[30:31], v[24:25]
	v_fma_f64 v[34:35], -v[24:25], v[30:31], 1.0
	v_fma_f64 v[30:31], v[30:31], v[34:35], v[30:31]
	v_fma_f64 v[34:35], -v[24:25], v[30:31], 1.0
	v_fma_f64 v[30:31], v[30:31], v[34:35], v[30:31]
	v_div_scale_f64 v[34:35], vcc, v[10:11], v[22:23], v[10:11]
	v_mul_f64 v[36:37], v[34:35], v[30:31]
	v_fma_f64 v[24:25], -v[24:25], v[36:37], v[34:35]
	s_nop 1
	v_div_fmas_f64 v[24:25], v[24:25], v[30:31], v[36:37]
	v_div_fixup_f64 v[12:13], v[24:25], v[22:23], v[10:11]
	v_div_scale_f64 v[22:23], s[0:1], v[50:51], v[50:51], v[2:3]
	v_rcp_f64_e32 v[24:25], v[22:23]
	v_fma_f64 v[30:31], -v[22:23], v[24:25], 1.0
	v_fma_f64 v[24:25], v[24:25], v[30:31], v[24:25]
	v_fma_f64 v[30:31], -v[22:23], v[24:25], 1.0
	v_fma_f64 v[24:25], v[24:25], v[30:31], v[24:25]
	v_div_scale_f64 v[30:31], vcc, v[2:3], v[50:51], v[2:3]
	buffer_store_dword v50, off, s[56:59], 0 offset:384 ; 4-byte Folded Spill
	s_nop 0
	buffer_store_dword v51, off, s[56:59], 0 offset:388 ; 4-byte Folded Spill
	buffer_load_dword v8, off, s[56:59], 0 offset:112 ; 4-byte Folded Reload
	buffer_load_dword v9, off, s[56:59], 0 offset:116 ; 4-byte Folded Reload
	v_mul_f64 v[34:35], v[30:31], v[24:25]
	v_fma_f64 v[22:23], -v[22:23], v[34:35], v[30:31]
	v_div_fmas_f64 v[22:23], v[22:23], v[24:25], v[34:35]
	v_div_fixup_f64 v[2:3], v[22:23], v[50:51], v[2:3]
	s_waitcnt vmcnt(0)
	v_fma_f64 v[0:1], v[8:9], v[12:13], v[0:1]
	v_add_f64 v[2:3], v[2:3], -v[54:55]
	v_add_f64 v[0:1], v[4:5], v[0:1]
	v_mul_f64 v[0:1], v[56:57], v[0:1]
	v_div_scale_f64 v[4:5], s[0:1], v[28:29], v[28:29], v[0:1]
	s_mov_b32 s0, 0xe2308c3a
	s_mov_b32 s1, 0x3e45798e
	v_rcp_f64_e32 v[12:13], v[4:5]
	v_fma_f64 v[22:23], -v[4:5], v[12:13], 1.0
	v_fma_f64 v[12:13], v[12:13], v[22:23], v[12:13]
	v_fma_f64 v[22:23], -v[4:5], v[12:13], 1.0
	v_fma_f64 v[12:13], v[12:13], v[22:23], v[12:13]
	v_div_scale_f64 v[22:23], vcc, v[0:1], v[28:29], v[0:1]
	v_mul_f64 v[24:25], v[22:23], v[12:13]
	v_fma_f64 v[4:5], -v[4:5], v[24:25], v[22:23]
	s_nop 1
	v_div_fmas_f64 v[4:5], v[4:5], v[12:13], v[24:25]
	v_div_fixup_f64 v[0:1], v[4:5], v[28:29], v[0:1]
                                        ; implicit-def: $vgpr4_vgpr5
	v_add_f64 v[0:1], v[2:3], -v[0:1]
	v_mul_f64 v[2:3], v[32:33], v[26:27]
	v_fma_f64 v[2:3], v[18:19], v[0:1], v[2:3]
	v_cmp_ngt_f64_e64 s[0:1], |v[2:3]|, s[0:1]
	s_and_saveexec_b64 s[2:3], s[0:1]
	s_xor_b64 s[0:1], exec, s[2:3]
; %bb.58:
	v_mul_f64 v[4:5], s[16:17], v[6:7]
                                        ; implicit-def: $vgpr2_vgpr3
                                        ; implicit-def: $vgpr6_vgpr7
; %bb.59:
	s_andn2_saveexec_b64 s[2:3], s[0:1]
	s_cbranch_execz .LBB0_61
; %bb.60:
	v_mul_f64 v[0:1], s[16:17], v[2:3]
	s_mov_b32 s0, 0x652b82fe
	s_mov_b32 s1, 0x3ff71547
	v_mov_b32_e32 v18, 0xfca7ab0c
	v_mov_b32_e32 v19, 0x3e928af3
	s_mov_b32 s4, 0
	s_mov_b32 s5, 0xc090cc00
	v_mul_f64 v[4:5], v[0:1], s[0:1]
	s_mov_b32 s0, 0xfefa39ef
	s_mov_b32 s1, 0xbfe62e42
	v_rndne_f64_e32 v[4:5], v[4:5]
	v_fma_f64 v[12:13], v[4:5], s[0:1], v[0:1]
	s_mov_b32 s0, 0x3b39803f
	s_mov_b32 s1, 0xbc7abc9e
	v_fma_f64 v[12:13], v[4:5], s[0:1], v[12:13]
	s_mov_b32 s0, 0x6a5dcb37
	s_mov_b32 s1, 0x3e5ade15
	v_cvt_i32_f64_e32 v4, v[4:5]
	v_fma_f64 v[18:19], v[12:13], s[0:1], v[18:19]
	s_mov_b32 s0, 0x623fde64
	s_mov_b32 s1, 0x3ec71dee
	v_fma_f64 v[18:19], v[12:13], v[18:19], s[0:1]
	s_mov_b32 s0, 0x7c89e6b0
	s_mov_b32 s1, 0x3efa0199
	;; [unrolled: 3-line block ×9, first 2 shown]
	v_cmp_nlt_f64_e32 vcc, s[0:1], v[0:1]
	v_cmp_ngt_f64_e64 s[0:1], s[4:5], v[0:1]
	v_fma_f64 v[18:19], v[12:13], v[18:19], 1.0
	v_fma_f64 v[12:13], v[12:13], v[18:19], 1.0
	v_ldexp_f64 v[4:5], v[12:13], v4
	v_mov_b32_e32 v12, 0x7ff00000
	v_mov_b32_e32 v13, 0xbff00000
	v_add_f64 v[4:5], v[4:5], -1.0
	v_cndmask_b32_e32 v5, v12, v5, vcc
	s_and_b64 vcc, s[0:1], vcc
	v_cndmask_b32_e64 v1, v13, v5, s[0:1]
	v_cndmask_b32_e32 v0, 0, v4, vcc
	v_mul_f64 v[0:1], v[6:7], v[0:1]
	v_div_scale_f64 v[4:5], s[0:1], v[2:3], v[2:3], v[0:1]
	v_div_scale_f64 v[18:19], vcc, v[0:1], v[2:3], v[0:1]
	v_rcp_f64_e32 v[6:7], v[4:5]
	v_fma_f64 v[12:13], -v[4:5], v[6:7], 1.0
	v_fma_f64 v[6:7], v[6:7], v[12:13], v[6:7]
	v_fma_f64 v[12:13], -v[4:5], v[6:7], 1.0
	v_fma_f64 v[6:7], v[6:7], v[12:13], v[6:7]
	v_mul_f64 v[12:13], v[18:19], v[6:7]
	v_fma_f64 v[4:5], -v[4:5], v[12:13], v[18:19]
	v_div_fmas_f64 v[4:5], v[4:5], v[6:7], v[12:13]
	v_div_fixup_f64 v[4:5], v[4:5], v[2:3], v[0:1]
.LBB0_61:
	s_or_b64 exec, exec, s[2:3]
	buffer_load_dword v0, off, s[56:59], 0 offset:576 ; 4-byte Folded Reload
	buffer_load_dword v1, off, s[56:59], 0 offset:580 ; 4-byte Folded Reload
	;; [unrolled: 1-line block ×4, first 2 shown]
                                        ; implicit-def: $vgpr26_vgpr27
	s_waitcnt vmcnt(2)
	v_mul_f64 v[24:25], v[0:1], v[0:1]
	s_waitcnt vmcnt(0)
	v_mul_f64 v[6:7], v[10:11], v[10:11]
	v_div_scale_f64 v[0:1], s[0:1], v[6:7], v[6:7], v[24:25]
	v_rcp_f64_e32 v[2:3], v[0:1]
	v_fma_f64 v[12:13], -v[0:1], v[2:3], 1.0
	v_fma_f64 v[2:3], v[2:3], v[12:13], v[2:3]
	v_div_scale_f64 v[12:13], vcc, v[24:25], v[6:7], v[24:25]
	v_fma_f64 v[18:19], -v[0:1], v[2:3], 1.0
	v_fma_f64 v[2:3], v[2:3], v[18:19], v[2:3]
	v_mul_f64 v[18:19], v[12:13], v[2:3]
	v_fma_f64 v[0:1], -v[0:1], v[18:19], v[12:13]
	v_div_fmas_f64 v[0:1], v[0:1], v[2:3], v[18:19]
	buffer_load_dword v16, off, s[56:59], 0 offset:568 ; 4-byte Folded Reload
	buffer_load_dword v17, off, s[56:59], 0 offset:572 ; 4-byte Folded Reload
	;; [unrolled: 1-line block ×4, first 2 shown]
	v_div_fixup_f64 v[0:1], v[0:1], v[6:7], v[24:25]
	v_add_f64 v[32:33], v[0:1], 1.0
	s_waitcnt vmcnt(0)
	v_add_f64 v[28:29], v[16:17], -v[2:3]
	v_div_scale_f64 v[0:1], s[0:1], v[32:33], v[32:33], v[28:29]
	s_mov_b32 s0, 0xe2308c3a
	s_mov_b32 s1, 0x3e45798e
	v_rcp_f64_e32 v[2:3], v[0:1]
	v_fma_f64 v[12:13], -v[0:1], v[2:3], 1.0
	v_fma_f64 v[2:3], v[2:3], v[12:13], v[2:3]
	v_div_scale_f64 v[12:13], vcc, v[28:29], v[32:33], v[28:29]
	v_fma_f64 v[18:19], -v[0:1], v[2:3], 1.0
	v_fma_f64 v[2:3], v[2:3], v[18:19], v[2:3]
	v_mul_f64 v[18:19], v[12:13], v[2:3]
	v_fma_f64 v[0:1], -v[0:1], v[18:19], v[12:13]
	buffer_load_dword v48, off, s[56:59], 0 offset:144 ; 4-byte Folded Reload
	buffer_load_dword v49, off, s[56:59], 0 offset:148 ; 4-byte Folded Reload
	;; [unrolled: 1-line block ×4, first 2 shown]
	v_div_fmas_f64 v[0:1], v[0:1], v[2:3], v[18:19]
	buffer_load_dword v2, off, s[56:59], 0 offset:560 ; 4-byte Folded Reload
	buffer_load_dword v3, off, s[56:59], 0 offset:564 ; 4-byte Folded Reload
	v_div_fixup_f64 v[0:1], v[0:1], v[32:33], v[28:29]
	v_add_f64 v[18:19], v[16:17], -v[0:1]
	buffer_load_dword v16, off, s[56:59], 0 offset:552 ; 4-byte Folded Reload
	buffer_load_dword v17, off, s[56:59], 0 offset:556 ; 4-byte Folded Reload
	;; [unrolled: 1-line block ×4, first 2 shown]
	s_waitcnt vmcnt(6)
	v_mul_f64 v[0:1], v[12:13], v[48:49]
	v_add_f64 v[12:13], -v[12:13], 1.0
	s_waitcnt vmcnt(4)
	v_mul_f64 v[2:3], v[2:3], v[18:19]
	v_mul_f64 v[0:1], v[0:1], v[2:3]
	s_waitcnt vmcnt(2)
	v_fma_f64 v[2:3], -v[48:49], v[2:3], -v[16:17]
	s_waitcnt vmcnt(0)
	v_add_f64 v[22:23], v[20:21], v[4:5]
	v_fma_f64 v[4:5], v[12:13], v[16:17], -v[0:1]
	buffer_load_dword v0, off, s[56:59], 0 offset:336 ; 4-byte Folded Reload
	buffer_load_dword v1, off, s[56:59], 0 offset:340 ; 4-byte Folded Reload
	v_cmp_ngt_f64_e64 s[0:1], |v[2:3]|, s[0:1]
	s_waitcnt vmcnt(0)
	global_store_dwordx2 v[0:1], v[22:23], off
	s_mov_b64 s[2:3], exec
	buffer_load_dword v42, off, s[56:59], 0 offset:24 ; 4-byte Folded Reload
	buffer_load_dword v43, off, s[56:59], 0 offset:28 ; 4-byte Folded Reload
	s_and_b64 s[4:5], s[2:3], s[0:1]
	s_xor_b64 s[0:1], s[4:5], s[2:3]
	s_mov_b64 exec, s[4:5]
; %bb.62:
	v_mul_f64 v[26:27], s[16:17], v[4:5]
                                        ; implicit-def: $vgpr2_vgpr3
                                        ; implicit-def: $vgpr4_vgpr5
; %bb.63:
	s_or_saveexec_b64 s[2:3], s[0:1]
	buffer_load_dword v0, off, s[56:59], 0 offset:216 ; 4-byte Folded Reload
	buffer_load_dword v1, off, s[56:59], 0 offset:220 ; 4-byte Folded Reload
	;; [unrolled: 1-line block ×4, first 2 shown]
	s_waitcnt vmcnt(0)
	v_mul_f64 v[14:15], v[8:9], v[0:1]
	s_xor_b64 exec, exec, s[2:3]
	s_cbranch_execz .LBB0_65
; %bb.64:
	v_mul_f64 v[0:1], s[16:17], v[2:3]
	s_mov_b32 s0, 0x652b82fe
	s_mov_b32 s1, 0x3ff71547
	v_mov_b32_e32 v26, 0xfca7ab0c
	v_mov_b32_e32 v27, 0x3e928af3
	s_mov_b32 s4, 0
	s_mov_b32 s5, 0xc090cc00
	v_mul_f64 v[12:13], v[0:1], s[0:1]
	s_mov_b32 s0, 0xfefa39ef
	s_mov_b32 s1, 0xbfe62e42
	v_rndne_f64_e32 v[12:13], v[12:13]
	v_fma_f64 v[22:23], v[12:13], s[0:1], v[0:1]
	s_mov_b32 s0, 0x3b39803f
	s_mov_b32 s1, 0xbc7abc9e
	v_fma_f64 v[22:23], v[12:13], s[0:1], v[22:23]
	s_mov_b32 s0, 0x6a5dcb37
	s_mov_b32 s1, 0x3e5ade15
	v_cvt_i32_f64_e32 v12, v[12:13]
	v_fma_f64 v[26:27], v[22:23], s[0:1], v[26:27]
	s_mov_b32 s0, 0x623fde64
	s_mov_b32 s1, 0x3ec71dee
	v_fma_f64 v[26:27], v[22:23], v[26:27], s[0:1]
	s_mov_b32 s0, 0x7c89e6b0
	s_mov_b32 s1, 0x3efa0199
	;; [unrolled: 3-line block ×9, first 2 shown]
	v_cmp_nlt_f64_e32 vcc, s[0:1], v[0:1]
	v_cmp_ngt_f64_e64 s[0:1], s[4:5], v[0:1]
	v_fma_f64 v[26:27], v[22:23], v[26:27], 1.0
	v_fma_f64 v[22:23], v[22:23], v[26:27], 1.0
	v_ldexp_f64 v[12:13], v[22:23], v12
	v_mov_b32_e32 v22, 0x7ff00000
	v_mov_b32_e32 v23, 0xbff00000
	v_add_f64 v[12:13], v[12:13], -1.0
	v_cndmask_b32_e32 v13, v22, v13, vcc
	s_and_b64 vcc, s[0:1], vcc
	v_cndmask_b32_e64 v1, v23, v13, s[0:1]
	v_cndmask_b32_e32 v0, 0, v12, vcc
	v_mul_f64 v[0:1], v[4:5], v[0:1]
	v_div_scale_f64 v[4:5], s[0:1], v[2:3], v[2:3], v[0:1]
	v_div_scale_f64 v[26:27], vcc, v[0:1], v[2:3], v[0:1]
	v_rcp_f64_e32 v[12:13], v[4:5]
	v_fma_f64 v[22:23], -v[4:5], v[12:13], 1.0
	v_fma_f64 v[12:13], v[12:13], v[22:23], v[12:13]
	v_fma_f64 v[22:23], -v[4:5], v[12:13], 1.0
	v_fma_f64 v[12:13], v[12:13], v[22:23], v[12:13]
	v_mul_f64 v[22:23], v[26:27], v[12:13]
	v_fma_f64 v[4:5], -v[4:5], v[22:23], v[26:27]
	v_div_fmas_f64 v[4:5], v[4:5], v[12:13], v[22:23]
	v_div_fixup_f64 v[26:27], v[4:5], v[2:3], v[0:1]
.LBB0_65:
	s_or_b64 exec, exec, s[2:3]
	buffer_load_dword v44, off, s[56:59], 0 offset:592 ; 4-byte Folded Reload
	buffer_load_dword v45, off, s[56:59], 0 offset:596 ; 4-byte Folded Reload
	;; [unrolled: 1-line block ×6, first 2 shown]
	v_mul_f64 v[6:7], v[10:11], v[6:7]
	s_mov_b32 s2, 0x4222de17
	s_mov_b32 s3, 0x3fbdee67
	;; [unrolled: 1-line block ×4, first 2 shown]
	s_movk_i32 s4, 0x204
	s_brev_b32 s5, -2
	s_waitcnt vmcnt(2)
	v_add_f64 v[26:27], v[20:21], v[26:27]
	v_div_scale_f64 v[0:1], s[0:1], v[18:19], v[18:19], v[44:45]
	v_rcp_f64_e32 v[2:3], v[0:1]
	v_fma_f64 v[4:5], -v[0:1], v[2:3], 1.0
	v_fma_f64 v[2:3], v[2:3], v[4:5], v[2:3]
	v_fma_f64 v[4:5], -v[0:1], v[2:3], 1.0
	v_fma_f64 v[2:3], v[2:3], v[4:5], v[2:3]
	v_div_scale_f64 v[4:5], vcc, v[44:45], v[18:19], v[44:45]
	v_mul_f64 v[12:13], v[4:5], v[2:3]
	v_fma_f64 v[0:1], -v[0:1], v[12:13], v[4:5]
	buffer_load_dword v4, off, s[56:59], 0 offset:544 ; 4-byte Folded Reload
	buffer_load_dword v5, off, s[56:59], 0 offset:548 ; 4-byte Folded Reload
	;; [unrolled: 1-line block ×8, first 2 shown]
	v_div_fmas_f64 v[0:1], v[0:1], v[2:3], v[12:13]
	s_waitcnt vmcnt(8)
	v_mul_f64 v[2:3], v[20:21], v[8:9]
	v_div_fixup_f64 v[46:47], v[0:1], v[18:19], v[44:45]
	v_mul_f64 v[0:1], v[2:3], v[46:47]
	s_waitcnt vmcnt(6)
	v_fma_f64 v[50:51], v[8:9], v[46:47], v[4:5]
	s_waitcnt vmcnt(0)
	global_store_dwordx2 v[16:17], v[26:27], off
	buffer_load_dword v16, off, s[56:59], 0 offset:520 ; 4-byte Folded Reload
	s_nop 0
	buffer_load_dword v17, off, s[56:59], 0 offset:524 ; 4-byte Folded Reload
	buffer_load_dword v8, off, s[56:59], 0 offset:720 ; 4-byte Folded Reload
	;; [unrolled: 1-line block ×3, first 2 shown]
	v_add_f64 v[26:27], v[10:11], -v[48:49]
	buffer_store_dword v46, off, s[56:59], 0 offset:536 ; 4-byte Folded Spill
	s_nop 0
	buffer_store_dword v47, off, s[56:59], 0 offset:540 ; 4-byte Folded Spill
	v_div_scale_f64 v[4:5], s[0:1], v[50:51], v[50:51], v[0:1]
	v_rcp_f64_e32 v[12:13], v[4:5]
	v_fma_f64 v[22:23], -v[4:5], v[12:13], 1.0
	v_fma_f64 v[12:13], v[12:13], v[22:23], v[12:13]
	v_fma_f64 v[22:23], -v[4:5], v[12:13], 1.0
	v_fma_f64 v[12:13], v[12:13], v[22:23], v[12:13]
	v_div_scale_f64 v[22:23], vcc, v[0:1], v[50:51], v[0:1]
	v_mul_f64 v[30:31], v[22:23], v[12:13]
	v_fma_f64 v[4:5], -v[4:5], v[30:31], v[22:23]
	s_nop 1
	v_div_fmas_f64 v[4:5], v[4:5], v[12:13], v[30:31]
	v_div_fixup_f64 v[12:13], v[4:5], v[50:51], v[0:1]
	v_add_f64 v[4:5], v[10:11], v[56:57]
	v_mul_f64 v[0:1], v[40:41], v[56:57]
	v_mul_f64 v[34:35], v[4:5], v[4:5]
	v_div_scale_f64 v[22:23], s[0:1], v[34:35], v[34:35], v[0:1]
	v_mul_f64 v[4:5], v[4:5], v[34:35]
	v_rcp_f64_e32 v[30:31], v[22:23]
	v_fma_f64 v[36:37], -v[22:23], v[30:31], 1.0
	v_fma_f64 v[30:31], v[30:31], v[36:37], v[30:31]
	v_fma_f64 v[36:37], -v[22:23], v[30:31], 1.0
	v_fma_f64 v[30:31], v[30:31], v[36:37], v[30:31]
	v_div_scale_f64 v[36:37], vcc, v[0:1], v[34:35], v[0:1]
	v_mul_f64 v[38:39], v[36:37], v[30:31]
	v_fma_f64 v[22:23], -v[22:23], v[38:39], v[36:37]
	s_nop 1
	v_div_fmas_f64 v[22:23], v[22:23], v[30:31], v[38:39]
	v_div_fixup_f64 v[0:1], v[22:23], v[34:35], v[0:1]
	v_add_f64 v[0:1], v[0:1], 1.0
	v_div_scale_f64 v[22:23], s[0:1], v[0:1], v[0:1], 1.0
	v_rcp_f64_e32 v[30:31], v[22:23]
	v_fma_f64 v[36:37], -v[22:23], v[30:31], 1.0
	v_fma_f64 v[30:31], v[30:31], v[36:37], v[30:31]
	v_fma_f64 v[36:37], -v[22:23], v[30:31], 1.0
	v_fma_f64 v[30:31], v[30:31], v[36:37], v[30:31]
	v_div_scale_f64 v[36:37], vcc, 1.0, v[0:1], 1.0
	v_mul_f64 v[38:39], v[36:37], v[30:31]
	v_fma_f64 v[22:23], -v[22:23], v[38:39], v[36:37]
	s_waitcnt vmcnt(4)
	v_mul_f64 v[36:37], v[26:27], v[16:17]
	v_div_fmas_f64 v[22:23], v[22:23], v[30:31], v[38:39]
	v_fma_f64 v[14:15], -v[36:37], v[12:13], -v[14:15]
	s_waitcnt vmcnt(2)
	v_add_f64 v[30:31], v[8:9], v[14:15]
	v_mul_f64 v[8:9], v[24:25], -2.0
	v_mul_f64 v[14:15], v[32:33], v[32:33]
	v_div_fixup_f64 v[22:23], v[22:23], v[0:1], 1.0
	v_mul_f64 v[0:1], v[0:1], v[0:1]
	v_mul_f64 v[8:9], v[8:9], v[28:29]
	;; [unrolled: 1-line block ×5, first 2 shown]
	v_div_scale_f64 v[14:15], s[0:1], v[6:7], v[6:7], v[8:9]
	v_rcp_f64_e32 v[24:25], v[14:15]
	v_fma_f64 v[28:29], -v[14:15], v[24:25], 1.0
	v_fma_f64 v[24:25], v[24:25], v[28:29], v[24:25]
	v_fma_f64 v[28:29], -v[14:15], v[24:25], 1.0
	v_fma_f64 v[24:25], v[24:25], v[28:29], v[24:25]
	v_div_scale_f64 v[28:29], vcc, v[8:9], v[6:7], v[8:9]
	v_mul_f64 v[32:33], v[28:29], v[24:25]
	v_fma_f64 v[14:15], -v[14:15], v[32:33], v[28:29]
	s_nop 1
	v_div_fmas_f64 v[14:15], v[14:15], v[24:25], v[32:33]
	v_div_fixup_f64 v[32:33], v[14:15], v[6:7], v[8:9]
	v_add_f64 v[6:7], v[40:41], v[40:41]
	v_mul_f64 v[6:7], v[6:7], v[56:57]
	v_div_scale_f64 v[4:5], s[0:1], v[0:1], v[0:1], v[6:7]
	v_rcp_f64_e32 v[8:9], v[4:5]
	v_fma_f64 v[14:15], -v[4:5], v[8:9], 1.0
	v_fma_f64 v[8:9], v[8:9], v[14:15], v[8:9]
	v_fma_f64 v[14:15], -v[4:5], v[8:9], 1.0
	v_fma_f64 v[8:9], v[8:9], v[14:15], v[8:9]
	v_div_scale_f64 v[14:15], vcc, v[6:7], v[0:1], v[6:7]
	v_mul_f64 v[24:25], v[14:15], v[8:9]
	v_fma_f64 v[4:5], -v[4:5], v[24:25], v[14:15]
	s_nop 1
	v_div_fmas_f64 v[4:5], v[4:5], v[8:9], v[24:25]
	v_div_fixup_f64 v[34:35], v[4:5], v[0:1], v[6:7]
	v_mul_f64 v[0:1], v[18:19], v[18:19]
	v_div_scale_f64 v[4:5], s[0:1], v[0:1], v[0:1], -v[44:45]
	v_rcp_f64_e32 v[6:7], v[4:5]
	v_fma_f64 v[8:9], -v[4:5], v[6:7], 1.0
	v_fma_f64 v[6:7], v[6:7], v[8:9], v[6:7]
	v_fma_f64 v[8:9], -v[4:5], v[6:7], 1.0
	v_fma_f64 v[6:7], v[6:7], v[8:9], v[6:7]
	v_div_scale_f64 v[8:9], vcc, -v[44:45], v[0:1], -v[44:45]
	v_mul_f64 v[14:15], v[8:9], v[6:7]
	v_fma_f64 v[4:5], -v[4:5], v[14:15], v[8:9]
	s_nop 1
	v_div_fmas_f64 v[4:5], v[4:5], v[6:7], v[14:15]
	v_div_fixup_f64 v[40:41], v[4:5], v[0:1], -v[44:45]
	v_div_scale_f64 v[0:1], s[0:1], v[50:51], v[50:51], v[2:3]
	s_mov_b32 s1, 0x3fe55555
	s_mov_b32 s0, 0x55555555
	v_rcp_f64_e32 v[4:5], v[0:1]
	v_fma_f64 v[6:7], -v[0:1], v[4:5], 1.0
	v_fma_f64 v[4:5], v[4:5], v[6:7], v[4:5]
	v_fma_f64 v[6:7], -v[0:1], v[4:5], 1.0
	v_fma_f64 v[4:5], v[4:5], v[6:7], v[4:5]
	v_div_scale_f64 v[6:7], vcc, v[2:3], v[50:51], v[2:3]
	v_mul_f64 v[8:9], v[6:7], v[4:5]
	v_fma_f64 v[0:1], -v[0:1], v[8:9], v[6:7]
	s_nop 1
	v_div_fmas_f64 v[0:1], v[0:1], v[4:5], v[8:9]
	v_cmp_eq_f64_e32 vcc, 1.0, v[48:49]
	v_mov_b32_e32 v8, 0
	v_div_fixup_f64 v[44:45], v[0:1], v[50:51], v[2:3]
	v_mov_b32_e32 v0, 0x40100000
	v_mov_b32_e32 v3, 0x3ff00000
	v_cndmask_b32_e32 v9, v0, v3, vcc
	v_frexp_mant_f64_e64 v[0:1], |v[48:49]|
	v_frexp_exp_i32_f64_e32 v2, v[48:49]
	buffer_store_dword v50, off, s[56:59], 0 offset:544 ; 4-byte Folded Spill
	s_nop 0
	buffer_store_dword v51, off, s[56:59], 0 offset:548 ; 4-byte Folded Spill
	v_cmp_gt_f64_e32 vcc, s[0:1], v[0:1]
	v_cndmask_b32_e64 v4, 0, 1, vcc
	v_ldexp_f64 v[0:1], v[0:1], v4
	v_subbrev_co_u32_e32 v2, vcc, 0, v2, vcc
	v_add_f64 v[6:7], v[0:1], 1.0
	v_add_f64 v[4:5], v[0:1], -1.0
	v_add_f64 v[14:15], v[6:7], -1.0
	v_add_f64 v[0:1], v[0:1], -v[14:15]
	v_rcp_f64_e32 v[14:15], v[6:7]
	v_fma_f64 v[18:19], -v[6:7], v[14:15], 1.0
	v_fma_f64 v[14:15], v[18:19], v[14:15], v[14:15]
	v_fma_f64 v[18:19], -v[6:7], v[14:15], 1.0
	v_fma_f64 v[14:15], v[18:19], v[14:15], v[14:15]
	v_mul_f64 v[18:19], v[4:5], v[14:15]
	v_mul_f64 v[24:25], v[6:7], v[18:19]
	v_fma_f64 v[6:7], v[18:19], v[6:7], -v[24:25]
	v_fma_f64 v[0:1], v[18:19], v[0:1], v[6:7]
	v_add_f64 v[6:7], v[24:25], v[0:1]
	v_add_f64 v[28:29], v[4:5], -v[6:7]
	v_add_f64 v[24:25], v[6:7], -v[24:25]
	;; [unrolled: 1-line block ×4, first 2 shown]
	v_cvt_f64_i32_e32 v[24:25], v2
	v_add_f64 v[4:5], v[4:5], -v[6:7]
	v_add_f64 v[0:1], v[0:1], v[4:5]
	v_add_f64 v[0:1], v[28:29], v[0:1]
	v_mul_f64 v[0:1], v[14:15], v[0:1]
	v_add_f64 v[4:5], v[18:19], v[0:1]
	v_add_f64 v[6:7], v[4:5], -v[18:19]
	v_add_f64 v[0:1], v[0:1], -v[6:7]
	v_mul_f64 v[6:7], v[4:5], v[4:5]
	v_add_f64 v[18:19], v[0:1], v[0:1]
	v_fma_f64 v[14:15], v[4:5], v[4:5], -v[6:7]
	v_ldexp_f64 v[56:57], v[0:1], 1
	v_fma_f64 v[14:15], v[4:5], v[18:19], v[14:15]
	v_add_f64 v[18:19], v[6:7], v[14:15]
	v_add_f64 v[6:7], v[18:19], -v[6:7]
	v_mul_f64 v[58:59], v[4:5], v[18:19]
	v_add_f64 v[6:7], v[14:15], -v[6:7]
	v_mov_b32_e32 v14, 0x968915a9
	v_mov_b32_e32 v15, 0x3fba6564
	v_fma_f64 v[14:15], v[18:19], s[2:3], v[14:15]
	s_mov_b32 s2, 0x3abe935a
	s_mov_b32 s3, 0x3fbe25e4
	v_fma_f64 v[60:61], v[18:19], v[4:5], -v[58:59]
	v_fma_f64 v[14:15], v[18:19], v[14:15], s[2:3]
	s_mov_b32 s2, 0x47e6c9c2
	s_mov_b32 s3, 0x3fc110ef
	v_fma_f64 v[0:1], v[18:19], v[0:1], v[60:61]
	v_fma_f64 v[14:15], v[18:19], v[14:15], s[2:3]
	s_mov_b32 s2, 0xcfa74449
	s_mov_b32 s3, 0x3fc3b13b
	v_fma_f64 v[0:1], v[6:7], v[4:5], v[0:1]
	;; [unrolled: 4-line block ×3, first 2 shown]
	s_mov_b32 s2, 0x1c7792ce
	s_mov_b32 s3, 0x3fcc71c7
	v_fma_f64 v[14:15], v[18:19], v[14:15], s[2:3]
	s_mov_b32 s2, 0x924920da
	s_mov_b32 s3, 0x3fd24924
	v_fma_f64 v[14:15], v[18:19], v[14:15], s[2:3]
	;; [unrolled: 3-line block ×3, first 2 shown]
	s_mov_b32 s3, 0x3fe62e42
	s_mov_b32 s2, 0xfefa39ef
	v_mul_f64 v[28:29], v[24:25], s[2:3]
	v_fma_f64 v[38:39], v[24:25], s[2:3], -v[28:29]
	s_mov_b32 s3, 0xbfe62e42
	v_fma_f64 v[24:25], v[24:25], s[6:7], v[38:39]
	s_mov_b32 s7, 0xbc7abc9e
	v_add_f64 v[38:39], v[28:29], v[24:25]
	v_add_f64 v[28:29], v[38:39], -v[28:29]
	v_add_f64 v[24:25], v[24:25], -v[28:29]
	v_ldexp_f64 v[28:29], v[4:5], 1
	v_add_f64 v[4:5], v[58:59], v[0:1]
	v_add_f64 v[58:59], v[4:5], -v[58:59]
	v_add_f64 v[0:1], v[0:1], -v[58:59]
	v_mul_f64 v[58:59], v[18:19], v[14:15]
	v_fma_f64 v[18:19], v[18:19], v[14:15], -v[58:59]
	v_fma_f64 v[6:7], v[6:7], v[14:15], v[18:19]
	v_add_f64 v[14:15], v[58:59], v[6:7]
	v_add_f64 v[18:19], v[14:15], -v[58:59]
	v_add_f64 v[6:7], v[6:7], -v[18:19]
	v_add_f64 v[18:19], v[14:15], s[0:1]
	s_mov_b32 s1, 0xbfe55555
	v_add_f64 v[58:59], v[18:19], s[0:1]
	s_mov_b32 s0, 0xd5df274d
	s_mov_b32 s1, 0x3c8543b0
	v_add_f64 v[6:7], v[6:7], s[0:1]
	s_mov_b32 s0, 0
	s_mov_b32 s1, 0x7ff00000
	v_add_f64 v[14:15], v[14:15], -v[58:59]
	v_add_f64 v[6:7], v[6:7], v[14:15]
	v_add_f64 v[14:15], v[18:19], v[6:7]
	v_add_f64 v[18:19], v[18:19], -v[14:15]
	v_add_f64 v[6:7], v[6:7], v[18:19]
	v_mul_f64 v[18:19], v[4:5], v[14:15]
	v_fma_f64 v[58:59], v[4:5], v[14:15], -v[18:19]
	v_fma_f64 v[4:5], v[4:5], v[6:7], v[58:59]
	v_fma_f64 v[0:1], v[0:1], v[14:15], v[4:5]
	v_add_f64 v[4:5], v[18:19], v[0:1]
	v_add_f64 v[6:7], v[4:5], -v[18:19]
	v_add_f64 v[0:1], v[0:1], -v[6:7]
	v_add_f64 v[6:7], v[28:29], v[4:5]
	v_add_f64 v[0:1], v[56:57], v[0:1]
	v_add_f64 v[14:15], v[6:7], -v[28:29]
	v_add_f64 v[4:5], v[4:5], -v[14:15]
	v_add_f64 v[0:1], v[0:1], v[4:5]
	;; [unrolled: 4-line block ×3, first 2 shown]
	v_add_f64 v[14:15], v[6:7], -v[38:39]
	v_add_f64 v[18:19], v[6:7], -v[14:15]
	;; [unrolled: 1-line block ×3, first 2 shown]
	v_add_f64 v[14:15], v[24:25], v[0:1]
	v_add_f64 v[18:19], v[38:39], -v[18:19]
	v_add_f64 v[4:5], v[4:5], v[18:19]
	v_add_f64 v[18:19], v[14:15], -v[24:25]
	;; [unrolled: 2-line block ×3, first 2 shown]
	v_add_f64 v[0:1], v[0:1], -v[18:19]
	v_mov_b32_e32 v18, 0xfca7ab0c
	v_mov_b32_e32 v19, 0x3e928af3
	v_add_f64 v[14:15], v[6:7], v[4:5]
	v_add_f64 v[24:25], v[24:25], -v[28:29]
                                        ; implicit-def: $vgpr28_vgpr29
	v_add_f64 v[6:7], v[14:15], -v[6:7]
	v_add_f64 v[0:1], v[0:1], v[24:25]
	v_add_f64 v[4:5], v[4:5], -v[6:7]
	v_add_f64 v[0:1], v[0:1], v[4:5]
	v_add_f64 v[4:5], v[14:15], v[0:1]
	v_add_f64 v[6:7], v[4:5], -v[14:15]
	v_add_f64 v[0:1], v[0:1], -v[6:7]
	v_mul_f64 v[6:7], v[8:9], v[4:5]
	v_fma_f64 v[4:5], v[8:9], v[4:5], -v[6:7]
	v_cmp_class_f64_e64 vcc, v[6:7], s4
	v_fma_f64 v[0:1], v[8:9], v[0:1], v[4:5]
	v_add_f64 v[4:5], v[6:7], v[0:1]
	v_add_f64 v[14:15], v[4:5], -v[6:7]
	v_cndmask_b32_e32 v5, v5, v7, vcc
	v_cndmask_b32_e32 v4, v4, v6, vcc
	v_cmp_neq_f64_e64 vcc, |v[4:5]|, s[0:1]
	s_mov_b32 s0, 0x652b82fe
	s_mov_b32 s1, 0x3ff71547
	v_mul_f64 v[6:7], v[4:5], s[0:1]
	s_mov_b32 s0, 0x6a5dcb37
	v_add_f64 v[0:1], v[0:1], -v[14:15]
	s_mov_b32 s1, 0x3e5ade15
	v_rndne_f64_e32 v[6:7], v[6:7]
	v_cndmask_b32_e32 v1, 0, v1, vcc
	v_cndmask_b32_e32 v0, 0, v0, vcc
	v_fma_f64 v[14:15], v[6:7], s[2:3], v[4:5]
	v_cvt_i32_f64_e32 v2, v[6:7]
	v_cmp_gt_f64_e64 s[2:3], 0, v[48:49]
	v_fma_f64 v[14:15], v[6:7], s[6:7], v[14:15]
	v_fma_f64 v[18:19], v[14:15], s[0:1], v[18:19]
	s_mov_b32 s0, 0x623fde64
	s_mov_b32 s1, 0x3ec71dee
	v_fma_f64 v[18:19], v[14:15], v[18:19], s[0:1]
	s_mov_b32 s0, 0x7c89e6b0
	s_mov_b32 s1, 0x3efa0199
	;; [unrolled: 3-line block ×9, first 2 shown]
	v_cmp_nlt_f64_e32 vcc, s[0:1], v[4:5]
	s_mov_b32 s0, 0
	s_mov_b32 s1, 0xc090cc00
	v_cmp_ngt_f64_e64 s[0:1], s[0:1], v[4:5]
	v_fma_f64 v[18:19], v[14:15], v[18:19], 1.0
	v_fma_f64 v[14:15], v[14:15], v[18:19], 1.0
	v_mul_f64 v[18:19], v[16:17], v[12:13]
	v_ldexp_f64 v[6:7], v[14:15], v2
	v_mov_b32_e32 v2, 0x7ff00000
	v_mul_f64 v[14:15], v[50:51], v[50:51]
	v_cndmask_b32_e32 v7, v2, v7, vcc
	s_and_b64 vcc, s[0:1], vcc
	v_cndmask_b32_e32 v4, 0, v6, vcc
	v_cndmask_b32_e64 v5, 0, v7, s[0:1]
	v_fma_f64 v[0:1], v[4:5], v[0:1], v[4:5]
	v_cmp_class_f64_e64 vcc, v[4:5], s4
	v_cndmask_b32_e32 v4, v0, v4, vcc
	v_cndmask_b32_e32 v5, v1, v5, vcc
	v_trunc_f64_e32 v[0:1], v[8:9]
	v_cmp_eq_f64_e32 vcc, v[0:1], v[8:9]
	v_mul_f64 v[0:1], v[8:9], 0.5
	v_trunc_f64_e32 v[6:7], v[0:1]
	v_cmp_neq_f64_e64 s[0:1], v[6:7], v[0:1]
	v_cndmask_b32_e32 v1, 0, v4, vcc
	v_cndmask_b32_e64 v4, v4, v1, s[2:3]
	s_and_b64 s[0:1], vcc, s[0:1]
	v_cndmask_b32_e64 v0, v3, v49, s[0:1]
	v_bfi_b32 v5, s5, v5, v0
	v_mov_b32_e32 v3, 0x7ff80000
	v_cndmask_b32_e32 v0, v3, v5, vcc
	v_cndmask_b32_e64 v5, v5, v0, s[2:3]
	v_cmp_class_f64_e64 s[2:3], v[48:49], s4
	v_cmp_eq_f64_e32 vcc, 0, v[48:49]
	v_cndmask_b32_e64 v1, 0, v49, s[0:1]
	s_or_b64 s[2:3], vcc, s[2:3]
	v_cndmask_b32_e64 v0, v2, 0, vcc
	v_cmp_o_f64_e32 vcc, v[48:49], v[48:49]
	v_bfi_b32 v0, s5, v0, v1
	v_cndmask_b32_e64 v1, v5, v0, s[2:3]
	v_cndmask_b32_e64 v0, v4, 0, s[2:3]
	v_cndmask_b32_e32 v0, 0, v0, vcc
	v_cndmask_b32_e32 v1, v3, v1, vcc
	v_mul_f64 v[0:1], v[20:21], v[0:1]
	v_mul_f64 v[0:1], v[46:47], v[0:1]
	v_div_scale_f64 v[2:3], s[0:1], v[14:15], v[14:15], v[0:1]
	s_mov_b32 s0, 0xe2308c3a
	s_mov_b32 s1, 0x3e45798e
	v_rcp_f64_e32 v[4:5], v[2:3]
	v_fma_f64 v[6:7], -v[2:3], v[4:5], 1.0
	v_fma_f64 v[4:5], v[4:5], v[6:7], v[4:5]
	v_fma_f64 v[6:7], -v[2:3], v[4:5], 1.0
	v_fma_f64 v[4:5], v[4:5], v[6:7], v[4:5]
	v_div_scale_f64 v[6:7], vcc, v[0:1], v[14:15], v[0:1]
	v_mul_f64 v[8:9], v[6:7], v[4:5]
	v_fma_f64 v[2:3], -v[2:3], v[8:9], v[6:7]
	s_nop 1
	v_div_fmas_f64 v[2:3], v[2:3], v[4:5], v[8:9]
	buffer_load_dword v4, off, s[56:59], 0 offset:216 ; 4-byte Folded Reload
	buffer_load_dword v5, off, s[56:59], 0 offset:220 ; 4-byte Folded Reload
	v_div_fixup_f64 v[0:1], v[2:3], v[14:15], v[0:1]
	v_add_f64 v[0:1], v[44:45], -v[0:1]
	v_mul_f64 v[0:1], v[36:37], v[0:1]
	v_mul_f64 v[0:1], v[40:41], v[0:1]
	v_fma_f64 v[2:3], v[32:33], v[0:1], v[18:19]
	s_waitcnt vmcnt(0)
	v_add_f64 v[2:3], -v[4:5], -v[2:3]
	v_fma_f64 v[0:1], -v[32:33], v[0:1], v[2:3]
	v_mul_f64 v[0:1], v[22:23], v[0:1]
	v_fma_f64 v[2:3], v[34:35], v[30:31], v[0:1]
	v_cmp_ngt_f64_e64 s[0:1], |v[2:3]|, s[0:1]
	s_and_saveexec_b64 s[2:3], s[0:1]
	s_xor_b64 s[0:1], exec, s[2:3]
; %bb.66:
	v_mul_f64 v[28:29], s[16:17], v[26:27]
                                        ; implicit-def: $vgpr2_vgpr3
                                        ; implicit-def: $vgpr26_vgpr27
; %bb.67:
	s_or_saveexec_b64 s[2:3], s[0:1]
	buffer_load_dword v0, off, s[56:59], 0 offset:200 ; 4-byte Folded Reload
	buffer_load_dword v1, off, s[56:59], 0 offset:204 ; 4-byte Folded Reload
	;; [unrolled: 1-line block ×4, first 2 shown]
	s_nop 0
	buffer_store_dword v36, off, s[56:59], 0 offset:528 ; 4-byte Folded Spill
	s_nop 0
	buffer_store_dword v37, off, s[56:59], 0 offset:532 ; 4-byte Folded Spill
	v_mul_f64 v[12:13], v[36:37], v[12:13]
	s_waitcnt vmcnt(2)
	v_mul_f64 v[6:7], v[4:5], v[0:1]
	s_xor_b64 exec, exec, s[2:3]
	s_cbranch_execz .LBB0_69
; %bb.68:
	v_mul_f64 v[0:1], s[16:17], v[2:3]
	s_mov_b32 s0, 0x652b82fe
	s_mov_b32 s1, 0x3ff71547
	v_mov_b32_e32 v16, 0xfca7ab0c
	v_mov_b32_e32 v17, 0x3e928af3
	s_mov_b32 s4, 0
	s_mov_b32 s5, 0xc090cc00
	v_mul_f64 v[4:5], v[0:1], s[0:1]
	s_mov_b32 s0, 0xfefa39ef
	s_mov_b32 s1, 0xbfe62e42
	v_rndne_f64_e32 v[4:5], v[4:5]
	v_fma_f64 v[8:9], v[4:5], s[0:1], v[0:1]
	s_mov_b32 s0, 0x3b39803f
	s_mov_b32 s1, 0xbc7abc9e
	v_fma_f64 v[8:9], v[4:5], s[0:1], v[8:9]
	s_mov_b32 s0, 0x6a5dcb37
	s_mov_b32 s1, 0x3e5ade15
	v_cvt_i32_f64_e32 v4, v[4:5]
	v_fma_f64 v[16:17], v[8:9], s[0:1], v[16:17]
	s_mov_b32 s0, 0x623fde64
	s_mov_b32 s1, 0x3ec71dee
	v_fma_f64 v[16:17], v[8:9], v[16:17], s[0:1]
	s_mov_b32 s0, 0x7c89e6b0
	s_mov_b32 s1, 0x3efa0199
	;; [unrolled: 3-line block ×9, first 2 shown]
	v_cmp_nlt_f64_e32 vcc, s[0:1], v[0:1]
	v_cmp_ngt_f64_e64 s[0:1], s[4:5], v[0:1]
	v_fma_f64 v[16:17], v[8:9], v[16:17], 1.0
	v_fma_f64 v[8:9], v[8:9], v[16:17], 1.0
	v_ldexp_f64 v[4:5], v[8:9], v4
	v_mov_b32_e32 v8, 0x7ff00000
	v_mov_b32_e32 v9, 0xbff00000
	v_add_f64 v[4:5], v[4:5], -1.0
	v_cndmask_b32_e32 v5, v8, v5, vcc
	s_and_b64 vcc, s[0:1], vcc
	v_cndmask_b32_e64 v1, v9, v5, s[0:1]
	v_cndmask_b32_e32 v0, 0, v4, vcc
	v_mul_f64 v[0:1], v[26:27], v[0:1]
	v_div_scale_f64 v[4:5], s[0:1], v[2:3], v[2:3], v[0:1]
	v_div_scale_f64 v[22:23], vcc, v[0:1], v[2:3], v[0:1]
	v_rcp_f64_e32 v[8:9], v[4:5]
	v_fma_f64 v[16:17], -v[4:5], v[8:9], 1.0
	v_fma_f64 v[8:9], v[8:9], v[16:17], v[8:9]
	v_fma_f64 v[16:17], -v[4:5], v[8:9], 1.0
	v_fma_f64 v[8:9], v[8:9], v[16:17], v[8:9]
	v_mul_f64 v[16:17], v[22:23], v[8:9]
	v_fma_f64 v[4:5], -v[4:5], v[16:17], v[22:23]
	v_div_fmas_f64 v[4:5], v[4:5], v[8:9], v[16:17]
	v_div_fixup_f64 v[28:29], v[4:5], v[2:3], v[0:1]
.LBB0_69:
	s_or_b64 exec, exec, s[2:3]
	buffer_load_dword v62, off, s[56:59], 0 offset:504 ; 4-byte Folded Reload
	buffer_load_dword v63, off, s[56:59], 0 offset:508 ; 4-byte Folded Reload
	;; [unrolled: 1-line block ×6, first 2 shown]
	v_ldexp_f64 v[30:31], v[48:49], -2
	v_mov_b32_e32 v26, 0x7ff00000
	s_waitcnt vmcnt(2)
	v_add_f64 v[16:17], v[48:49], v[58:59]
	v_mul_f64 v[0:1], v[62:63], v[58:59]
	v_mul_f64 v[22:23], v[16:17], v[16:17]
	v_div_scale_f64 v[2:3], s[0:1], v[22:23], v[22:23], v[0:1]
	v_mul_f64 v[16:17], v[16:17], v[22:23]
	v_rcp_f64_e32 v[4:5], v[2:3]
	v_fma_f64 v[8:9], -v[2:3], v[4:5], 1.0
	v_fma_f64 v[4:5], v[4:5], v[8:9], v[4:5]
	v_fma_f64 v[8:9], -v[2:3], v[4:5], 1.0
	v_fma_f64 v[4:5], v[4:5], v[8:9], v[4:5]
	v_div_scale_f64 v[8:9], vcc, v[0:1], v[22:23], v[0:1]
	v_mul_f64 v[24:25], v[8:9], v[4:5]
	v_fma_f64 v[2:3], -v[2:3], v[24:25], v[8:9]
	s_nop 1
	v_div_fmas_f64 v[2:3], v[2:3], v[4:5], v[24:25]
	v_div_fixup_f64 v[0:1], v[2:3], v[22:23], v[0:1]
	v_add_f64 v[24:25], v[0:1], 1.0
	v_div_scale_f64 v[0:1], s[0:1], v[24:25], v[24:25], 1.0
	s_mov_b32 s0, 0
	s_mov_b32 s1, 0xc02e0000
	v_rcp_f64_e32 v[2:3], v[0:1]
	v_fma_f64 v[4:5], -v[0:1], v[2:3], 1.0
	v_fma_f64 v[2:3], v[2:3], v[4:5], v[2:3]
	v_fma_f64 v[4:5], -v[0:1], v[2:3], 1.0
	v_fma_f64 v[2:3], v[2:3], v[4:5], v[2:3]
	v_div_scale_f64 v[4:5], vcc, 1.0, v[24:25], 1.0
	v_mul_f64 v[8:9], v[4:5], v[2:3]
	v_fma_f64 v[0:1], -v[0:1], v[8:9], v[4:5]
	s_nop 1
	v_div_fmas_f64 v[0:1], v[0:1], v[2:3], v[8:9]
	v_mov_b32_e32 v2, 0x3f847ae1
	v_div_fixup_f64 v[8:9], v[0:1], v[24:25], 1.0
	v_add_f64 v[0:1], v[42:43], s[0:1]
	s_mov_b32 s0, 0x47ae147b
	s_mov_b32 s1, 0x3f847ae1
	v_cmp_lt_f64_e64 s[0:1], |v[0:1]|, s[0:1]
	v_cndmask_b32_e64 v61, v1, v2, s[0:1]
	buffer_load_dword v2, off, s[56:59], 0 offset:16 ; 4-byte Folded Reload
	buffer_load_dword v3, off, s[56:59], 0 offset:20 ; 4-byte Folded Reload
	;; [unrolled: 1-line block ×6, first 2 shown]
	v_mov_b32_e32 v1, 0x47ae147b
	v_cndmask_b32_e64 v60, v0, v1, s[0:1]
	s_waitcnt vmcnt(6)
	v_mul_f64 v[0:1], v[20:21], 4.0
	s_waitcnt vmcnt(4)
	v_mul_f64 v[56:57], v[2:3], v[2:3]
	v_mul_f64 v[2:3], v[0:1], v[56:57]
	s_waitcnt vmcnt(2)
	v_mul_f64 v[0:1], v[60:61], v[46:47]
	s_waitcnt vmcnt(0)
	v_div_scale_f64 v[4:5], s[2:3], v[10:11], v[10:11], v[0:1]
	s_mov_b32 s2, 0x652b82fe
	s_mov_b32 s3, 0x3ff71547
	v_rcp_f64_e32 v[32:33], v[4:5]
	v_fma_f64 v[34:35], -v[4:5], v[32:33], 1.0
	v_fma_f64 v[32:33], v[32:33], v[34:35], v[32:33]
	v_fma_f64 v[34:35], -v[4:5], v[32:33], 1.0
	v_fma_f64 v[32:33], v[32:33], v[34:35], v[32:33]
	v_div_scale_f64 v[34:35], vcc, v[0:1], v[10:11], v[0:1]
	v_mul_f64 v[38:39], v[34:35], v[32:33]
	v_fma_f64 v[4:5], -v[4:5], v[38:39], v[34:35]
	v_mov_b32_e32 v34, 0xfca7ab0c
	v_mov_b32_e32 v35, 0x3e928af3
	v_div_fmas_f64 v[4:5], v[4:5], v[32:33], v[38:39]
	v_div_fixup_f64 v[0:1], v[4:5], v[10:11], v[0:1]
	v_mul_f64 v[4:5], v[0:1], s[2:3]
	s_mov_b32 s2, 0xfefa39ef
	s_mov_b32 s3, 0xbfe62e42
	v_rndne_f64_e32 v[4:5], v[4:5]
	v_fma_f64 v[32:33], v[4:5], s[2:3], v[0:1]
	s_mov_b32 s2, 0x3b39803f
	s_mov_b32 s3, 0xbc7abc9e
	v_fma_f64 v[32:33], v[4:5], s[2:3], v[32:33]
	s_mov_b32 s2, 0x6a5dcb37
	s_mov_b32 s3, 0x3e5ade15
	v_cvt_i32_f64_e32 v4, v[4:5]
	v_fma_f64 v[34:35], v[32:33], s[2:3], v[34:35]
	s_mov_b32 s2, 0x623fde64
	s_mov_b32 s3, 0x3ec71dee
	v_fma_f64 v[34:35], v[32:33], v[34:35], s[2:3]
	s_mov_b32 s2, 0x7c89e6b0
	s_mov_b32 s3, 0x3efa0199
	v_fma_f64 v[34:35], v[32:33], v[34:35], s[2:3]
	s_mov_b32 s2, 0x14761f6e
	s_mov_b32 s3, 0x3f2a01a0
	v_fma_f64 v[34:35], v[32:33], v[34:35], s[2:3]
	s_mov_b32 s2, 0x1852b7b0
	s_mov_b32 s3, 0x3f56c16c
	v_fma_f64 v[34:35], v[32:33], v[34:35], s[2:3]
	s_mov_b32 s2, 0x11122322
	s_mov_b32 s3, 0x3f811111
	v_fma_f64 v[34:35], v[32:33], v[34:35], s[2:3]
	s_mov_b32 s2, 0x555502a1
	s_mov_b32 s3, 0x3fa55555
	v_fma_f64 v[34:35], v[32:33], v[34:35], s[2:3]
	s_mov_b32 s2, 0x55555511
	s_mov_b32 s3, 0x3fc55555
	v_fma_f64 v[34:35], v[32:33], v[34:35], s[2:3]
	s_mov_b32 s2, 11
	s_mov_b32 s3, 0x3fe00000
	v_fma_f64 v[34:35], v[32:33], v[34:35], s[2:3]
	s_mov_b32 s2, 0
	s_mov_b32 s3, 0x40900000
	v_cmp_nlt_f64_e32 vcc, s[2:3], v[0:1]
	s_mov_b32 s2, 0
	s_mov_b32 s3, 0xc090cc00
	v_cmp_ngt_f64_e64 s[2:3], s[2:3], v[0:1]
	buffer_load_dword v0, off, s[56:59], 0 offset:56 ; 4-byte Folded Reload
	buffer_load_dword v1, off, s[56:59], 0 offset:60 ; 4-byte Folded Reload
	v_fma_f64 v[34:35], v[32:33], v[34:35], 1.0
	v_fma_f64 v[32:33], v[32:33], v[34:35], 1.0
	v_ldexp_f64 v[4:5], v[32:33], v4
	v_cndmask_b32_e32 v5, v26, v5, vcc
	s_and_b64 vcc, s[2:3], vcc
	v_cndmask_b32_e32 v54, 0, v4, vcc
	v_cndmask_b32_e64 v55, 0, v5, s[2:3]
	s_waitcnt vmcnt(0)
	v_fma_f64 v[0:1], v[30:31], v[54:55], -v[0:1]
	buffer_store_dword v0, off, s[56:59], 0 offset:336 ; 4-byte Folded Spill
	s_nop 0
	buffer_store_dword v1, off, s[56:59], 0 offset:340 ; 4-byte Folded Spill
	v_mul_f64 v[0:1], v[2:3], v[0:1]
	buffer_store_dword v0, off, s[56:59], 0 offset:520 ; 4-byte Folded Spill
	s_nop 0
	buffer_store_dword v1, off, s[56:59], 0 offset:524 ; 4-byte Folded Spill
	buffer_load_dword v44, off, s[56:59], 0 offset:88 ; 4-byte Folded Reload
	buffer_load_dword v45, off, s[56:59], 0 offset:92 ; 4-byte Folded Reload
	;; [unrolled: 1-line block ×6, first 2 shown]
	v_add_f64 v[2:3], v[54:55], -1.0
	buffer_load_dword v40, off, s[56:59], 0 offset:80 ; 4-byte Folded Reload
	buffer_load_dword v41, off, s[56:59], 0 offset:84 ; 4-byte Folded Reload
	s_nop 0
	buffer_store_dword v2, off, s[56:59], 0 offset:328 ; 4-byte Folded Spill
	s_nop 0
	buffer_store_dword v3, off, s[56:59], 0 offset:332 ; 4-byte Folded Spill
	v_mul_f64 v[0:1], v[60:61], v[0:1]
	s_waitcnt vmcnt(8)
	v_mul_f64 v[0:1], v[44:45], v[0:1]
	v_mul_f64 v[36:37], v[10:11], v[2:3]
	s_waitcnt vmcnt(6)
	v_mul_f64 v[0:1], v[34:35], v[0:1]
	s_waitcnt vmcnt(4)
	;; [unrolled: 2-line block ×3, first 2 shown]
	v_mul_f64 v[0:1], v[40:41], v[0:1]
	v_div_scale_f64 v[2:3], s[2:3], v[36:37], v[36:37], v[0:1]
	v_rcp_f64_e32 v[4:5], v[2:3]
	v_fma_f64 v[30:31], -v[2:3], v[4:5], 1.0
	v_fma_f64 v[4:5], v[4:5], v[30:31], v[4:5]
	v_fma_f64 v[30:31], -v[2:3], v[4:5], 1.0
	v_fma_f64 v[4:5], v[4:5], v[30:31], v[4:5]
	v_div_scale_f64 v[30:31], vcc, v[0:1], v[36:37], v[0:1]
	v_mul_f64 v[32:33], v[30:31], v[4:5]
	v_fma_f64 v[2:3], -v[2:3], v[32:33], v[30:31]
	s_nop 1
	v_div_fmas_f64 v[2:3], v[2:3], v[4:5], v[32:33]
	v_div_fixup_f64 v[10:11], v[2:3], v[36:37], v[0:1]
	buffer_load_dword v0, off, s[56:59], 0 offset:344 ; 4-byte Folded Reload
	buffer_load_dword v1, off, s[56:59], 0 offset:348 ; 4-byte Folded Reload
	;; [unrolled: 1-line block ×4, first 2 shown]
	s_waitcnt vmcnt(2)
	v_add_f64 v[0:1], v[0:1], v[28:29]
	s_waitcnt vmcnt(0)
	global_store_dwordx2 v[2:3], v[0:1], off
	buffer_load_dword v32, off, s[56:59], 0 offset:312 ; 4-byte Folded Reload
	buffer_load_dword v33, off, s[56:59], 0 offset:316 ; 4-byte Folded Reload
	;; [unrolled: 1-line block ×8, first 2 shown]
	s_nop 0
	buffer_store_dword v10, off, s[56:59], 0 offset:320 ; 4-byte Folded Spill
	s_nop 0
	buffer_store_dword v11, off, s[56:59], 0 offset:324 ; 4-byte Folded Spill
	s_waitcnt vmcnt(8)
	v_mul_f64 v[0:1], v[32:33], v[12:13]
	s_waitcnt vmcnt(6)
	v_div_scale_f64 v[2:3], s[2:3], v[42:43], v[42:43], v[0:1]
	v_rcp_f64_e32 v[4:5], v[2:3]
	v_fma_f64 v[12:13], -v[2:3], v[4:5], 1.0
	v_fma_f64 v[4:5], v[4:5], v[12:13], v[4:5]
	v_fma_f64 v[12:13], -v[2:3], v[4:5], 1.0
	v_fma_f64 v[4:5], v[4:5], v[12:13], v[4:5]
	v_div_scale_f64 v[12:13], vcc, v[0:1], v[42:43], v[0:1]
	v_mul_f64 v[28:29], v[12:13], v[4:5]
	v_fma_f64 v[2:3], -v[2:3], v[28:29], v[12:13]
	s_nop 1
	v_div_fmas_f64 v[2:3], v[2:3], v[4:5], v[28:29]
	v_div_fixup_f64 v[0:1], v[2:3], v[42:43], v[0:1]
	s_waitcnt vmcnt(4)
	v_mul_f64 v[2:3], v[6:7], v[50:51]
	v_div_scale_f64 v[4:5], s[2:3], v[42:43], v[42:43], v[2:3]
	v_rcp_f64_e32 v[6:7], v[4:5]
	v_fma_f64 v[12:13], -v[4:5], v[6:7], 1.0
	v_fma_f64 v[6:7], v[6:7], v[12:13], v[6:7]
	v_fma_f64 v[12:13], -v[4:5], v[6:7], 1.0
	v_fma_f64 v[6:7], v[6:7], v[12:13], v[6:7]
	v_div_scale_f64 v[12:13], vcc, v[2:3], v[42:43], v[2:3]
	v_mul_f64 v[28:29], v[12:13], v[6:7]
	v_fma_f64 v[4:5], -v[4:5], v[28:29], v[12:13]
	s_nop 1
	v_div_fmas_f64 v[4:5], v[4:5], v[6:7], v[28:29]
	v_div_fixup_f64 v[2:3], v[4:5], v[42:43], v[2:3]
	v_add_f64 v[0:1], v[0:1], -v[2:3]
	s_waitcnt vmcnt(2)
	v_mul_f64 v[2:3], v[26:27], v[10:11]
	v_mul_f64 v[10:11], v[42:43], v[46:47]
	v_div_scale_f64 v[4:5], s[2:3], v[10:11], v[10:11], v[2:3]
	v_rcp_f64_e32 v[6:7], v[4:5]
	v_fma_f64 v[12:13], -v[4:5], v[6:7], 1.0
	v_fma_f64 v[6:7], v[6:7], v[12:13], v[6:7]
	v_fma_f64 v[12:13], -v[4:5], v[6:7], 1.0
	v_fma_f64 v[6:7], v[6:7], v[12:13], v[6:7]
	v_div_scale_f64 v[12:13], vcc, v[2:3], v[10:11], v[2:3]
	v_mul_f64 v[28:29], v[12:13], v[6:7]
	v_fma_f64 v[4:5], -v[4:5], v[28:29], v[12:13]
	s_nop 1
	v_div_fmas_f64 v[4:5], v[4:5], v[6:7], v[28:29]
	v_div_fixup_f64 v[2:3], v[4:5], v[10:11], v[2:3]
	v_add_f64 v[12:13], v[0:1], -v[2:3]
	buffer_load_dword v0, off, s[56:59], 0 offset:376 ; 4-byte Folded Reload
	buffer_load_dword v1, off, s[56:59], 0 offset:380 ; 4-byte Folded Reload
	;; [unrolled: 1-line block ×6, first 2 shown]
	v_mul_f64 v[6:7], v[8:9], v[12:13]
	s_waitcnt vmcnt(4)
	v_mul_f64 v[0:1], v[48:49], v[0:1]
	s_waitcnt vmcnt(2)
	v_mul_f64 v[2:3], v[52:53], v[52:53]
	v_add_f64 v[0:1], v[0:1], v[0:1]
	v_mul_f64 v[0:1], v[0:1], v[2:3]
	s_waitcnt vmcnt(0)
	v_mul_f64 v[0:1], v[46:47], v[0:1]
	v_div_scale_f64 v[2:3], s[2:3], v[14:15], v[14:15], v[0:1]
	v_rcp_f64_e32 v[4:5], v[2:3]
	v_fma_f64 v[28:29], -v[2:3], v[4:5], 1.0
	v_fma_f64 v[4:5], v[4:5], v[28:29], v[4:5]
	v_fma_f64 v[28:29], -v[2:3], v[4:5], 1.0
	v_fma_f64 v[4:5], v[4:5], v[28:29], v[4:5]
	v_div_scale_f64 v[28:29], vcc, v[0:1], v[14:15], v[0:1]
	v_mul_f64 v[30:31], v[28:29], v[4:5]
	v_fma_f64 v[2:3], -v[2:3], v[30:31], v[28:29]
	s_nop 1
	v_div_fmas_f64 v[2:3], v[2:3], v[4:5], v[30:31]
	v_div_fixup_f64 v[0:1], v[2:3], v[14:15], v[0:1]
	v_add_f64 v[2:3], v[48:49], v[48:49]
	v_mul_f64 v[2:3], v[46:47], v[2:3]
	buffer_load_dword v46, off, s[56:59], 0 offset:544 ; 4-byte Folded Reload
	buffer_load_dword v47, off, s[56:59], 0 offset:548 ; 4-byte Folded Reload
	v_mul_f64 v[2:3], v[2:3], v[52:53]
	s_waitcnt vmcnt(0)
	v_div_scale_f64 v[4:5], s[2:3], v[46:47], v[46:47], v[2:3]
	v_rcp_f64_e32 v[14:15], v[4:5]
	v_fma_f64 v[28:29], -v[4:5], v[14:15], 1.0
	v_fma_f64 v[14:15], v[14:15], v[28:29], v[14:15]
	v_fma_f64 v[28:29], -v[4:5], v[14:15], 1.0
	v_fma_f64 v[14:15], v[14:15], v[28:29], v[14:15]
	v_div_scale_f64 v[28:29], vcc, v[2:3], v[46:47], v[2:3]
	v_mul_f64 v[30:31], v[28:29], v[14:15]
	v_fma_f64 v[4:5], -v[4:5], v[30:31], v[28:29]
	buffer_load_dword v28, off, s[56:59], 0 offset:528 ; 4-byte Folded Reload
	buffer_load_dword v29, off, s[56:59], 0 offset:532 ; 4-byte Folded Reload
	s_nop 0
	buffer_store_dword v56, off, s[56:59], 0 offset:504 ; 4-byte Folded Spill
	s_nop 0
	buffer_store_dword v57, off, s[56:59], 0 offset:508 ; 4-byte Folded Spill
	buffer_store_dword v60, off, s[56:59], 0 offset:216 ; 4-byte Folded Spill
	s_nop 0
	buffer_store_dword v61, off, s[56:59], 0 offset:220 ; 4-byte Folded Spill
	;; [unrolled: 3-line block ×3, first 2 shown]
	v_div_fmas_f64 v[4:5], v[4:5], v[14:15], v[30:31]
	v_mul_f64 v[14:15], v[24:25], v[24:25]
	v_mul_f64 v[14:15], v[16:17], v[14:15]
	v_div_fixup_f64 v[2:3], v[4:5], v[46:47], v[2:3]
	v_add_f64 v[0:1], v[2:3], -v[0:1]
	v_add_f64 v[2:3], v[62:63], v[62:63]
	v_mul_f64 v[2:3], v[2:3], v[58:59]
	v_div_scale_f64 v[16:17], s[2:3], v[14:15], v[14:15], v[2:3]
	s_waitcnt vmcnt(6)
	v_fma_f64 v[4:5], v[28:29], v[0:1], -v[18:19]
	v_rcp_f64_e32 v[18:19], v[16:17]
	v_fma_f64 v[0:1], v[28:29], v[0:1], v[4:5]
	v_mul_f64 v[0:1], v[32:33], v[0:1]
	v_fma_f64 v[22:23], -v[16:17], v[18:19], 1.0
	v_div_scale_f64 v[4:5], s[2:3], v[42:43], v[42:43], v[0:1]
	v_fma_f64 v[18:19], v[18:19], v[22:23], v[18:19]
	v_fma_f64 v[22:23], -v[16:17], v[18:19], 1.0
	v_fma_f64 v[18:19], v[18:19], v[22:23], v[18:19]
	v_div_scale_f64 v[22:23], vcc, v[2:3], v[14:15], v[2:3]
	v_mul_f64 v[24:25], v[22:23], v[18:19]
	v_fma_f64 v[16:17], -v[16:17], v[24:25], v[22:23]
	s_nop 1
	v_div_fmas_f64 v[16:17], v[16:17], v[18:19], v[24:25]
	v_div_fixup_f64 v[14:15], v[16:17], v[14:15], v[2:3]
	v_mul_f64 v[2:3], v[20:21], v[56:57]
	v_mul_f64 v[2:3], v[60:61], v[2:3]
	;; [unrolled: 1-line block ×4, first 2 shown]
	v_mov_b32_e32 v55, v37
	v_mov_b32_e32 v54, v36
	v_mul_f64 v[2:3], v[34:35], v[2:3]
	v_mul_f64 v[2:3], v[38:39], v[2:3]
	;; [unrolled: 1-line block ×3, first 2 shown]
	v_div_scale_f64 v[16:17], s[2:3], v[54:55], v[54:55], v[2:3]
	v_rcp_f64_e32 v[18:19], v[16:17]
	v_fma_f64 v[22:23], -v[16:17], v[18:19], 1.0
	v_fma_f64 v[18:19], v[18:19], v[22:23], v[18:19]
	v_fma_f64 v[22:23], -v[16:17], v[18:19], 1.0
	v_fma_f64 v[18:19], v[18:19], v[22:23], v[18:19]
	v_div_scale_f64 v[22:23], vcc, v[2:3], v[54:55], v[2:3]
	v_mul_f64 v[24:25], v[22:23], v[18:19]
	v_fma_f64 v[16:17], -v[16:17], v[24:25], v[22:23]
	s_nop 1
	v_div_fmas_f64 v[16:17], v[16:17], v[18:19], v[24:25]
	v_div_fixup_f64 v[2:3], v[16:17], v[54:55], v[2:3]
	v_rcp_f64_e32 v[16:17], v[4:5]
	v_mul_f64 v[2:3], v[26:27], v[2:3]
	v_fma_f64 v[18:19], -v[4:5], v[16:17], 1.0
	v_fma_f64 v[16:17], v[16:17], v[18:19], v[16:17]
	v_fma_f64 v[18:19], -v[4:5], v[16:17], 1.0
	v_fma_f64 v[16:17], v[16:17], v[18:19], v[16:17]
	v_div_scale_f64 v[18:19], vcc, v[0:1], v[42:43], v[0:1]
	v_mul_f64 v[22:23], v[18:19], v[16:17]
	v_fma_f64 v[4:5], -v[4:5], v[22:23], v[18:19]
	s_nop 1
	v_div_fmas_f64 v[4:5], v[4:5], v[16:17], v[22:23]
	v_div_fixup_f64 v[0:1], v[4:5], v[42:43], v[0:1]
	buffer_load_dword v4, off, s[56:59], 0 offset:200 ; 4-byte Folded Reload
	buffer_load_dword v5, off, s[56:59], 0 offset:204 ; 4-byte Folded Reload
	s_waitcnt vmcnt(0)
	v_mul_f64 v[4:5], v[4:5], v[50:51]
	v_div_scale_f64 v[16:17], s[2:3], v[42:43], v[42:43], v[4:5]
	v_rcp_f64_e32 v[18:19], v[16:17]
	v_fma_f64 v[22:23], -v[16:17], v[18:19], 1.0
	v_fma_f64 v[18:19], v[18:19], v[22:23], v[18:19]
	v_fma_f64 v[22:23], -v[16:17], v[18:19], 1.0
	v_fma_f64 v[18:19], v[18:19], v[22:23], v[18:19]
	v_div_scale_f64 v[22:23], vcc, v[4:5], v[42:43], v[4:5]
	v_mul_f64 v[24:25], v[22:23], v[18:19]
	v_fma_f64 v[16:17], -v[16:17], v[24:25], v[22:23]
	s_nop 1
	v_div_fmas_f64 v[16:17], v[16:17], v[18:19], v[24:25]
	v_div_fixup_f64 v[4:5], v[16:17], v[42:43], v[4:5]
	v_add_f64 v[0:1], v[0:1], -v[4:5]
	v_div_scale_f64 v[4:5], s[2:3], v[10:11], v[10:11], v[2:3]
	s_mov_b32 s2, 0xe2308c3a
	s_mov_b32 s3, 0x3e45798e
	v_rcp_f64_e32 v[16:17], v[4:5]
	v_fma_f64 v[18:19], -v[4:5], v[16:17], 1.0
	v_fma_f64 v[16:17], v[16:17], v[18:19], v[16:17]
	v_fma_f64 v[18:19], -v[4:5], v[16:17], 1.0
	v_fma_f64 v[16:17], v[16:17], v[18:19], v[16:17]
	v_div_scale_f64 v[18:19], vcc, v[2:3], v[10:11], v[2:3]
	v_mul_f64 v[22:23], v[18:19], v[16:17]
	v_fma_f64 v[4:5], -v[4:5], v[22:23], v[18:19]
	s_nop 1
	v_div_fmas_f64 v[4:5], v[4:5], v[16:17], v[22:23]
	v_div_fixup_f64 v[2:3], v[4:5], v[10:11], v[2:3]
	v_add_f64 v[0:1], v[0:1], -v[2:3]
	v_mul_f64 v[2:3], v[14:15], v[12:13]
                                        ; implicit-def: $vgpr14_vgpr15
	v_fma_f64 v[2:3], v[8:9], v[0:1], v[2:3]
	v_cmp_ngt_f64_e64 s[2:3], |v[2:3]|, s[2:3]
	s_and_saveexec_b64 s[4:5], s[2:3]
	s_xor_b64 s[2:3], exec, s[4:5]
; %bb.70:
	v_mul_f64 v[14:15], s[16:17], v[6:7]
                                        ; implicit-def: $vgpr2_vgpr3
                                        ; implicit-def: $vgpr6_vgpr7
; %bb.71:
	s_andn2_saveexec_b64 s[4:5], s[2:3]
	s_cbranch_execz .LBB0_73
; %bb.72:
	v_mul_f64 v[0:1], s[16:17], v[2:3]
	s_mov_b32 s2, 0x652b82fe
	s_mov_b32 s3, 0x3ff71547
	v_mov_b32_e32 v10, 0xfca7ab0c
	v_mov_b32_e32 v11, 0x3e928af3
	s_mov_b32 s6, 0
	s_mov_b32 s7, 0xc090cc00
	v_mul_f64 v[4:5], v[0:1], s[2:3]
	s_mov_b32 s2, 0xfefa39ef
	s_mov_b32 s3, 0xbfe62e42
	v_rndne_f64_e32 v[4:5], v[4:5]
	v_fma_f64 v[8:9], v[4:5], s[2:3], v[0:1]
	s_mov_b32 s2, 0x3b39803f
	s_mov_b32 s3, 0xbc7abc9e
	v_fma_f64 v[8:9], v[4:5], s[2:3], v[8:9]
	s_mov_b32 s2, 0x6a5dcb37
	s_mov_b32 s3, 0x3e5ade15
	v_cvt_i32_f64_e32 v4, v[4:5]
	v_fma_f64 v[10:11], v[8:9], s[2:3], v[10:11]
	s_mov_b32 s2, 0x623fde64
	s_mov_b32 s3, 0x3ec71dee
	v_fma_f64 v[10:11], v[8:9], v[10:11], s[2:3]
	s_mov_b32 s2, 0x7c89e6b0
	s_mov_b32 s3, 0x3efa0199
	;; [unrolled: 3-line block ×9, first 2 shown]
	v_cmp_nlt_f64_e32 vcc, s[2:3], v[0:1]
	v_cmp_ngt_f64_e64 s[2:3], s[6:7], v[0:1]
	v_fma_f64 v[10:11], v[8:9], v[10:11], 1.0
	v_fma_f64 v[8:9], v[8:9], v[10:11], 1.0
	v_ldexp_f64 v[4:5], v[8:9], v4
	v_mov_b32_e32 v8, 0x7ff00000
	v_mov_b32_e32 v9, 0xbff00000
	v_add_f64 v[4:5], v[4:5], -1.0
	v_cndmask_b32_e32 v5, v8, v5, vcc
	s_and_b64 vcc, s[2:3], vcc
	v_cndmask_b32_e64 v1, v9, v5, s[2:3]
	v_cndmask_b32_e32 v0, 0, v4, vcc
	v_mul_f64 v[0:1], v[6:7], v[0:1]
	v_div_scale_f64 v[4:5], s[2:3], v[2:3], v[2:3], v[0:1]
	v_div_scale_f64 v[10:11], vcc, v[0:1], v[2:3], v[0:1]
	v_rcp_f64_e32 v[6:7], v[4:5]
	v_fma_f64 v[8:9], -v[4:5], v[6:7], 1.0
	v_fma_f64 v[6:7], v[6:7], v[8:9], v[6:7]
	v_fma_f64 v[8:9], -v[4:5], v[6:7], 1.0
	v_fma_f64 v[6:7], v[6:7], v[8:9], v[6:7]
	v_mul_f64 v[8:9], v[10:11], v[6:7]
	v_fma_f64 v[4:5], -v[4:5], v[8:9], v[10:11]
	v_div_fmas_f64 v[4:5], v[4:5], v[6:7], v[8:9]
	v_div_fixup_f64 v[14:15], v[4:5], v[2:3], v[0:1]
.LBB0_73:
	s_or_b64 exec, exec, s[4:5]
	buffer_load_dword v0, off, s[56:59], 0 offset:296 ; 4-byte Folded Reload
	buffer_load_dword v1, off, s[56:59], 0 offset:300 ; 4-byte Folded Reload
	buffer_load_dword v2, off, s[56:59], 0 offset:496 ; 4-byte Folded Reload
	buffer_load_dword v3, off, s[56:59], 0 offset:500 ; 4-byte Folded Reload
	buffer_load_dword v34, off, s[56:59], 0 offset:40 ; 4-byte Folded Reload
	buffer_load_dword v35, off, s[56:59], 0 offset:44 ; 4-byte Folded Reload
	s_mov_b32 s8, 0x652b82fe
	s_mov_b32 s9, 0x3ff71547
	;; [unrolled: 1-line block ×28, first 2 shown]
	v_mov_b32_e32 v22, 0x7ff00000
	s_waitcnt vmcnt(2)
	v_mul_f64 v[44:45], v[2:3], v[0:1]
	buffer_load_dword v2, off, s[56:59], 0 offset:480 ; 4-byte Folded Reload
	buffer_load_dword v3, off, s[56:59], 0 offset:484 ; 4-byte Folded Reload
	s_waitcnt vmcnt(2)
	v_mul_f64 v[4:5], v[34:35], v[44:45]
	s_waitcnt vmcnt(0)
	v_add_f64 v[8:9], v[34:35], v[2:3]
	buffer_load_dword v2, off, s[56:59], 0 offset:488 ; 4-byte Folded Reload
	buffer_load_dword v3, off, s[56:59], 0 offset:492 ; 4-byte Folded Reload
	;; [unrolled: 1-line block ×8, first 2 shown]
	s_waitcnt vmcnt(6)
	v_add_f64 v[12:13], v[2:3], v[0:1]
	s_waitcnt vmcnt(2)
	v_mul_f64 v[0:1], v[42:43], -v[20:21]
	v_mul_f64 v[28:29], v[8:9], v[12:13]
	s_waitcnt vmcnt(0)
	v_div_scale_f64 v[2:3], s[2:3], v[26:27], v[26:27], v[0:1]
	s_mov_b32 s2, 0xfca7ab0c
	s_mov_b32 s3, 0x3e928af3
	v_mul_f64 v[8:9], v[8:9], v[8:9]
	v_mul_f64 v[8:9], v[8:9], v[12:13]
	v_rcp_f64_e32 v[6:7], v[2:3]
	v_fma_f64 v[10:11], -v[2:3], v[6:7], 1.0
	v_fma_f64 v[6:7], v[6:7], v[10:11], v[6:7]
	v_fma_f64 v[10:11], -v[2:3], v[6:7], 1.0
	v_fma_f64 v[6:7], v[6:7], v[10:11], v[6:7]
	v_div_scale_f64 v[10:11], vcc, v[0:1], v[26:27], v[0:1]
	v_mul_f64 v[16:17], v[10:11], v[6:7]
	v_fma_f64 v[2:3], -v[2:3], v[16:17], v[10:11]
	v_mov_b32_e32 v11, s3
	v_mov_b32_e32 v10, s2
	v_div_fmas_f64 v[2:3], v[2:3], v[6:7], v[16:17]
	v_div_fixup_f64 v[0:1], v[2:3], v[26:27], v[0:1]
	v_mul_f64 v[2:3], v[0:1], s[8:9]
	v_cmp_nlt_f64_e32 vcc, s[10:11], v[0:1]
	v_cmp_ngt_f64_e64 s[2:3], s[18:19], v[0:1]
	v_rndne_f64_e32 v[2:3], v[2:3]
	v_fma_f64 v[6:7], v[2:3], s[6:7], v[0:1]
	v_fma_f64 v[6:7], v[2:3], s[4:5], v[6:7]
	v_cvt_i32_f64_e32 v2, v[2:3]
	v_fma_f64 v[16:17], v[6:7], s[12:13], v[10:11]
	v_fma_f64 v[16:17], v[6:7], v[16:17], s[20:21]
	;; [unrolled: 1-line block ×9, first 2 shown]
	v_fma_f64 v[16:17], v[6:7], v[16:17], 1.0
	v_fma_f64 v[6:7], v[6:7], v[16:17], 1.0
	v_ldexp_f64 v[2:3], v[6:7], v2
	v_cndmask_b32_e32 v3, v22, v3, vcc
	s_and_b64 vcc, s[2:3], vcc
	v_cndmask_b32_e32 v0, 0, v2, vcc
	v_cndmask_b32_e64 v1, 0, v3, s[2:3]
	buffer_store_dword v0, off, s[56:59], 0 offset:312 ; 4-byte Folded Spill
	s_nop 0
	buffer_store_dword v1, off, s[56:59], 0 offset:316 ; 4-byte Folded Spill
	s_mov_b32 s2, 0x7318fc50
	s_mov_b32 s3, 0x3fa212d7
	v_fma_f64 v[6:7], v[0:1], s[2:3], 1.0
	s_mov_b32 s2, 0x9999999a
	s_mov_b32 s3, 0xbfb99999
	v_mul_f64 v[0:1], v[20:21], s[2:3]
	v_mul_f64 v[0:1], v[42:43], v[0:1]
	v_div_scale_f64 v[2:3], s[2:3], v[26:27], v[26:27], v[0:1]
	v_rcp_f64_e32 v[16:17], v[2:3]
	v_fma_f64 v[18:19], -v[2:3], v[16:17], 1.0
	v_fma_f64 v[16:17], v[16:17], v[18:19], v[16:17]
	v_fma_f64 v[18:19], -v[2:3], v[16:17], 1.0
	v_fma_f64 v[16:17], v[16:17], v[18:19], v[16:17]
	v_div_scale_f64 v[18:19], vcc, v[0:1], v[26:27], v[0:1]
	v_mul_f64 v[23:24], v[18:19], v[16:17]
	v_fma_f64 v[2:3], -v[2:3], v[23:24], v[18:19]
	s_nop 1
	v_div_fmas_f64 v[2:3], v[2:3], v[16:17], v[23:24]
	v_div_fixup_f64 v[2:3], v[2:3], v[26:27], v[0:1]
	v_mul_f64 v[0:1], v[2:3], s[8:9]
	v_cmp_nlt_f64_e32 vcc, s[10:11], v[2:3]
	v_cmp_ngt_f64_e64 s[2:3], s[18:19], v[2:3]
	s_mov_b32 s8, 0xbf559e2b
	s_mov_b32 s9, 0x3fc3ab76
	v_rndne_f64_e32 v[0:1], v[0:1]
	v_fma_f64 v[16:17], v[0:1], s[6:7], v[2:3]
	s_mov_b32 s7, 0x3fe62e42
	v_fma_f64 v[16:17], v[0:1], s[4:5], v[16:17]
	v_cvt_i32_f64_e32 v0, v[0:1]
	s_mov_b32 s5, 0x3c7abc9e
	v_fma_f64 v[10:11], v[16:17], s[12:13], v[10:11]
	v_fma_f64 v[10:11], v[16:17], v[10:11], s[20:21]
	;; [unrolled: 1-line block ×9, first 2 shown]
	v_fma_f64 v[10:11], v[16:17], v[10:11], 1.0
	v_fma_f64 v[10:11], v[16:17], v[10:11], 1.0
	v_ldexp_f64 v[0:1], v[10:11], v0
	v_cndmask_b32_e32 v1, v22, v1, vcc
	s_and_b64 vcc, s[2:3], vcc
	v_cndmask_b32_e32 v0, 0, v0, vcc
	v_cndmask_b32_e64 v1, 0, v1, s[2:3]
	buffer_store_dword v0, off, s[56:59], 0 offset:376 ; 4-byte Folded Spill
	s_nop 0
	buffer_store_dword v1, off, s[56:59], 0 offset:380 ; 4-byte Folded Spill
	buffer_store_dword v28, off, s[56:59], 0 offset:200 ; 4-byte Folded Spill
	s_nop 0
	buffer_store_dword v29, off, s[56:59], 0 offset:204 ; 4-byte Folded Spill
	s_mov_b32 s2, 0x645a1cac
	s_mov_b32 s3, 0x3fbfdf3b
	buffer_load_dword v18, off, s[56:59], 0 offset:176 ; 4-byte Folded Reload
	buffer_load_dword v19, off, s[56:59], 0 offset:180 ; 4-byte Folded Reload
	v_fma_f64 v[46:47], v[0:1], s[2:3], v[6:7]
	v_mul_f64 v[16:17], v[28:29], v[46:47]
	v_div_scale_f64 v[0:1], s[2:3], v[16:17], v[16:17], v[4:5]
	v_rcp_f64_e32 v[2:3], v[0:1]
	v_fma_f64 v[6:7], -v[0:1], v[2:3], 1.0
	v_fma_f64 v[2:3], v[2:3], v[6:7], v[2:3]
	v_fma_f64 v[6:7], -v[0:1], v[2:3], 1.0
	v_fma_f64 v[2:3], v[2:3], v[6:7], v[2:3]
	v_div_scale_f64 v[6:7], vcc, v[4:5], v[16:17], v[4:5]
	v_mul_f64 v[10:11], v[6:7], v[2:3]
	v_fma_f64 v[0:1], -v[0:1], v[10:11], v[6:7]
	s_nop 1
	v_div_fmas_f64 v[0:1], v[0:1], v[2:3], v[10:11]
	v_div_fixup_f64 v[58:59], v[0:1], v[16:17], v[4:5]
	s_waitcnt vmcnt(0)
	v_div_scale_f64 v[0:1], s[2:3], v[34:35], v[34:35], v[18:19]
	s_mov_b32 s3, 0x3fe55555
	s_mov_b32 s2, 0x55555555
	v_rcp_f64_e32 v[2:3], v[0:1]
	v_fma_f64 v[6:7], -v[0:1], v[2:3], 1.0
	v_fma_f64 v[2:3], v[2:3], v[6:7], v[2:3]
	v_fma_f64 v[6:7], -v[0:1], v[2:3], 1.0
	v_fma_f64 v[2:3], v[2:3], v[6:7], v[2:3]
	v_div_scale_f64 v[6:7], vcc, v[18:19], v[34:35], v[18:19]
	v_mul_f64 v[10:11], v[6:7], v[2:3]
	v_fma_f64 v[0:1], -v[0:1], v[10:11], v[6:7]
	s_nop 1
	v_div_fmas_f64 v[0:1], v[0:1], v[2:3], v[10:11]
	v_div_fixup_f64 v[6:7], v[0:1], v[34:35], v[18:19]
	v_frexp_mant_f64_e32 v[0:1], v[6:7]
	v_frexp_exp_i32_f64_e32 v2, v[6:7]
	v_cmp_gt_f64_e32 vcc, s[2:3], v[0:1]
	s_mov_b32 s2, 0x55555780
	v_cndmask_b32_e64 v3, 0, 1, vcc
	v_ldexp_f64 v[0:1], v[0:1], v3
	v_subbrev_co_u32_e32 v25, vcc, 0, v2, vcc
	v_add_f64 v[10:11], v[0:1], 1.0
	v_add_f64 v[2:3], v[0:1], -1.0
	v_add_f64 v[18:19], v[10:11], -1.0
	v_add_f64 v[0:1], v[0:1], -v[18:19]
	v_rcp_f64_e32 v[18:19], v[10:11]
	v_fma_f64 v[23:24], -v[10:11], v[18:19], 1.0
	v_fma_f64 v[18:19], v[23:24], v[18:19], v[18:19]
	v_fma_f64 v[23:24], -v[10:11], v[18:19], 1.0
	v_fma_f64 v[18:19], v[23:24], v[18:19], v[18:19]
	v_mul_f64 v[23:24], v[2:3], v[18:19]
	v_mul_f64 v[28:29], v[10:11], v[23:24]
	v_fma_f64 v[10:11], v[23:24], v[10:11], -v[28:29]
	v_fma_f64 v[0:1], v[23:24], v[0:1], v[10:11]
	v_add_f64 v[10:11], v[28:29], v[0:1]
	v_add_f64 v[30:31], v[2:3], -v[10:11]
	v_add_f64 v[28:29], v[10:11], -v[28:29]
	;; [unrolled: 1-line block ×5, first 2 shown]
	v_add_f64 v[0:1], v[0:1], v[2:3]
	v_add_f64 v[0:1], v[30:31], v[0:1]
	v_mul_f64 v[0:1], v[18:19], v[0:1]
	v_mov_b32_e32 v18, 0x6b47b09a
	v_mov_b32_e32 v19, 0x3fc38538
	v_add_f64 v[2:3], v[23:24], v[0:1]
	v_add_f64 v[10:11], v[2:3], -v[23:24]
	v_ldexp_f64 v[23:24], v[2:3], 1
	v_add_f64 v[0:1], v[0:1], -v[10:11]
	v_mul_f64 v[10:11], v[2:3], v[2:3]
	v_ldexp_f64 v[0:1], v[0:1], 1
	v_fma_f64 v[18:19], v[10:11], s[8:9], v[18:19]
	s_mov_b32 s8, 0xd7f4df2e
	s_mov_b32 s9, 0x3fc7474d
	v_mul_f64 v[2:3], v[2:3], v[10:11]
	v_fma_f64 v[18:19], v[10:11], v[18:19], s[8:9]
	s_mov_b32 s8, 0x16291751
	s_mov_b32 s9, 0x3fcc71c0
	v_fma_f64 v[18:19], v[10:11], v[18:19], s[8:9]
	s_mov_b32 s8, 0x9b27acf1
	s_mov_b32 s9, 0x3fd24924
	;; [unrolled: 3-line block ×3, first 2 shown]
	v_fma_f64 v[18:19], v[10:11], v[18:19], s[8:9]
	v_fma_f64 v[18:19], v[10:11], v[18:19], s[2:3]
	s_movk_i32 s2, 0x204
	v_cmp_class_f64_e64 vcc, v[6:7], s2
	v_mul_f64 v[2:3], v[2:3], v[18:19]
	v_add_f64 v[10:11], v[23:24], v[2:3]
	v_add_f64 v[18:19], v[10:11], -v[23:24]
	v_add_f64 v[2:3], v[2:3], -v[18:19]
	v_add_f64 v[0:1], v[0:1], v[2:3]
	v_add_f64 v[18:19], v[10:11], v[0:1]
	v_add_f64 v[2:3], v[18:19], -v[10:11]
	v_add_f64 v[10:11], v[0:1], -v[2:3]
	v_cvt_f64_i32_e32 v[2:3], v25
	v_mul_f64 v[0:1], v[2:3], s[6:7]
	v_fma_f64 v[23:24], v[2:3], s[6:7], -v[0:1]
	v_fma_f64 v[2:3], v[2:3], s[4:5], v[23:24]
	v_add_f64 v[23:24], v[0:1], v[2:3]
	v_add_f64 v[0:1], v[23:24], -v[0:1]
	v_add_f64 v[0:1], v[2:3], -v[0:1]
	v_add_f64 v[2:3], v[23:24], v[18:19]
	v_add_f64 v[28:29], v[2:3], -v[23:24]
	v_add_f64 v[30:31], v[2:3], -v[28:29]
	;; [unrolled: 1-line block ×4, first 2 shown]
	v_add_f64 v[18:19], v[18:19], v[23:24]
	v_add_f64 v[23:24], v[0:1], v[10:11]
	v_add_f64 v[28:29], v[23:24], -v[0:1]
	v_add_f64 v[30:31], v[23:24], -v[28:29]
	;; [unrolled: 1-line block ×4, first 2 shown]
	v_add_f64 v[0:1], v[10:11], v[0:1]
	v_add_f64 v[10:11], v[23:24], v[18:19]
	;; [unrolled: 1-line block ×3, first 2 shown]
	v_add_f64 v[2:3], v[18:19], -v[2:3]
	v_add_f64 v[2:3], v[10:11], -v[2:3]
	v_add_f64 v[0:1], v[0:1], v[2:3]
	v_mov_b32_e32 v2, 0xfff80000
	v_add_f64 v[0:1], v[18:19], v[0:1]
	v_cndmask_b32_e32 v0, v0, v6, vcc
	v_cndmask_b32_e64 v1, -v1, -v7, vcc
	v_cmp_ngt_f64_e32 vcc, 0, v[6:7]
	v_cndmask_b32_e32 v1, v2, v1, vcc
	v_cmp_nge_f64_e32 vcc, 0, v[6:7]
	v_cndmask_b32_e32 v0, 0, v0, vcc
	v_cmp_neq_f64_e32 vcc, 0, v[6:7]
	v_cndmask_b32_e32 v1, v22, v1, vcc
	v_mul_f64 v[0:1], v[26:27], v[0:1]
	v_div_scale_f64 v[2:3], s[2:3], v[20:21], v[20:21], v[0:1]
	s_mov_b32 s2, 0
	s_mov_b32 s3, 0xc0080000
	v_rcp_f64_e32 v[6:7], v[2:3]
	v_fma_f64 v[10:11], -v[2:3], v[6:7], 1.0
	v_fma_f64 v[6:7], v[6:7], v[10:11], v[6:7]
	v_fma_f64 v[10:11], -v[2:3], v[6:7], 1.0
	v_fma_f64 v[6:7], v[6:7], v[10:11], v[6:7]
	v_div_scale_f64 v[10:11], vcc, v[0:1], v[20:21], v[0:1]
	v_mul_f64 v[18:19], v[10:11], v[6:7]
	v_fma_f64 v[2:3], -v[2:3], v[18:19], v[10:11]
	s_nop 1
	v_div_fmas_f64 v[2:3], v[2:3], v[6:7], v[18:19]
	v_div_fixup_f64 v[0:1], v[2:3], v[20:21], v[0:1]
	buffer_load_dword v2, off, s[56:59], 0 offset:184 ; 4-byte Folded Reload
	buffer_load_dword v3, off, s[56:59], 0 offset:188 ; 4-byte Folded Reload
	v_add_f64 v[10:11], v[42:43], v[0:1]
	s_waitcnt vmcnt(0)
	v_mul_f64 v[0:1], v[2:3], v[2:3]
	v_mul_f64 v[0:1], v[2:3], v[0:1]
	buffer_load_dword v2, off, s[56:59], 0 offset:472 ; 4-byte Folded Reload
	buffer_load_dword v3, off, s[56:59], 0 offset:476 ; 4-byte Folded Reload
	;; [unrolled: 1-line block ×8, first 2 shown]
	s_waitcnt vmcnt(6)
	v_mul_f64 v[2:3], v[0:1], v[2:3]
	v_mul_f64 v[0:1], v[2:3], v[10:11]
	s_waitcnt vmcnt(4)
	v_mul_f64 v[2:3], v[40:41], v[2:3]
	v_mul_f64 v[0:1], v[40:41], v[0:1]
	s_waitcnt vmcnt(2)
	v_mul_f64 v[18:19], v[36:37], v[0:1]
	v_add_f64 v[0:1], v[48:49], v[14:15]
	s_waitcnt vmcnt(0)
	global_store_dwordx2 v[6:7], v[0:1], off
	buffer_load_dword v38, off, s[56:59], 0 offset:104 ; 4-byte Folded Reload
	buffer_load_dword v39, off, s[56:59], 0 offset:108 ; 4-byte Folded Reload
	s_nop 0
	buffer_store_dword v18, off, s[56:59], 0 offset:496 ; 4-byte Folded Spill
	s_nop 0
	buffer_store_dword v19, off, s[56:59], 0 offset:500 ; 4-byte Folded Spill
	buffer_load_dword v6, off, s[56:59], 0 offset:368 ; 4-byte Folded Reload
	buffer_load_dword v7, off, s[56:59], 0 offset:372 ; 4-byte Folded Reload
	;; [unrolled: 1-line block ×4, first 2 shown]
	s_waitcnt vmcnt(6)
	v_fma_f64 v[0:1], -v[38:39], v[10:11], -v[18:19]
	s_waitcnt vmcnt(2)
	v_fma_f64 v[0:1], v[6:7], s[2:3], v[0:1]
	v_fma_f64 v[0:1], v[58:59], s[2:3], v[0:1]
	s_waitcnt vmcnt(0)
	v_mul_f64 v[6:7], v[26:27], v[0:1]
	buffer_load_dword v0, off, s[56:59], 0 offset:384 ; 4-byte Folded Reload
	buffer_load_dword v1, off, s[56:59], 0 offset:388 ; 4-byte Folded Reload
	s_waitcnt vmcnt(0)
	v_mul_f64 v[0:1], v[20:21], v[0:1]
	v_div_scale_f64 v[14:15], s[4:5], v[0:1], v[0:1], v[6:7]
	v_rcp_f64_e32 v[18:19], v[14:15]
	v_fma_f64 v[22:23], -v[14:15], v[18:19], 1.0
	v_fma_f64 v[18:19], v[18:19], v[22:23], v[18:19]
	v_fma_f64 v[22:23], -v[14:15], v[18:19], 1.0
	v_fma_f64 v[18:19], v[18:19], v[22:23], v[18:19]
	v_div_scale_f64 v[22:23], vcc, v[6:7], v[0:1], v[6:7]
	v_mul_f64 v[24:25], v[22:23], v[18:19]
	v_fma_f64 v[14:15], -v[14:15], v[24:25], v[22:23]
	s_nop 1
	v_div_fmas_f64 v[14:15], v[14:15], v[18:19], v[24:25]
	v_div_fixup_f64 v[6:7], v[14:15], v[0:1], v[6:7]
	buffer_load_dword v14, off, s[56:59], 0 offset:152 ; 4-byte Folded Reload
	buffer_load_dword v15, off, s[56:59], 0 offset:156 ; 4-byte Folded Reload
	;; [unrolled: 1-line block ×4, first 2 shown]
	s_waitcnt vmcnt(0)
	v_mul_f64 v[30:31], v[18:19], -v[14:15]
	v_mul_f64 v[14:15], v[34:35], v[20:21]
	v_div_scale_f64 v[18:19], s[4:5], v[14:15], v[14:15], v[30:31]
	s_mov_b32 s4, 0
	s_mov_b32 s5, 0x40080000
	v_rcp_f64_e32 v[22:23], v[18:19]
	v_fma_f64 v[24:25], -v[18:19], v[22:23], 1.0
	v_fma_f64 v[22:23], v[22:23], v[24:25], v[22:23]
	v_fma_f64 v[24:25], -v[18:19], v[22:23], 1.0
	v_fma_f64 v[22:23], v[22:23], v[24:25], v[22:23]
	v_div_scale_f64 v[24:25], vcc, v[30:31], v[14:15], v[30:31]
	buffer_store_dword v30, off, s[56:59], 0 offset:304 ; 4-byte Folded Spill
	s_nop 0
	buffer_store_dword v31, off, s[56:59], 0 offset:308 ; 4-byte Folded Spill
	v_mul_f64 v[28:29], v[24:25], v[22:23]
	v_fma_f64 v[18:19], -v[18:19], v[28:29], v[24:25]
	v_div_fmas_f64 v[18:19], v[18:19], v[22:23], v[28:29]
	v_div_fixup_f64 v[14:15], v[18:19], v[14:15], v[30:31]
	buffer_load_dword v18, off, s[56:59], 0 offset:56 ; 4-byte Folded Reload
	buffer_load_dword v19, off, s[56:59], 0 offset:60 ; 4-byte Folded Reload
	;; [unrolled: 1-line block ×4, first 2 shown]
	s_waitcnt vmcnt(2)
	v_mul_f64 v[18:19], v[18:19], s[4:5]
	s_waitcnt vmcnt(0)
	v_mul_f64 v[18:19], v[20:21], v[18:19]
	buffer_load_dword v20, off, s[56:59], 0 offset:688 ; 4-byte Folded Reload
	buffer_load_dword v21, off, s[56:59], 0 offset:692 ; 4-byte Folded Reload
	s_waitcnt vmcnt(0)
	v_mul_f64 v[18:19], v[20:21], v[18:19]
	buffer_load_dword v20, off, s[56:59], 0 offset:352 ; 4-byte Folded Reload
	buffer_load_dword v21, off, s[56:59], 0 offset:356 ; 4-byte Folded Reload
	;; [unrolled: 4-line block ×3, first 2 shown]
	s_nop 0
	buffer_store_dword v2, off, s[56:59], 0 offset:384 ; 4-byte Folded Spill
	s_nop 0
	buffer_store_dword v3, off, s[56:59], 0 offset:388 ; 4-byte Folded Spill
	v_mul_f64 v[2:3], v[36:37], v[2:3]
	s_waitcnt vmcnt(2)
	v_div_scale_f64 v[22:23], s[4:5], v[20:21], v[20:21], v[18:19]
	v_rcp_f64_e32 v[24:25], v[22:23]
	v_fma_f64 v[28:29], -v[22:23], v[24:25], 1.0
	v_fma_f64 v[24:25], v[24:25], v[28:29], v[24:25]
	v_fma_f64 v[28:29], -v[22:23], v[24:25], 1.0
	v_fma_f64 v[24:25], v[24:25], v[28:29], v[24:25]
	v_div_scale_f64 v[28:29], vcc, v[18:19], v[20:21], v[18:19]
	v_mul_f64 v[30:31], v[28:29], v[24:25]
	v_fma_f64 v[22:23], -v[22:23], v[30:31], v[28:29]
	s_nop 1
	v_div_fmas_f64 v[22:23], v[22:23], v[24:25], v[30:31]
	v_div_fixup_f64 v[18:19], v[22:23], v[20:21], v[18:19]
	v_div_scale_f64 v[22:23], s[4:5], v[16:17], v[16:17], v[44:45]
	v_rcp_f64_e32 v[24:25], v[22:23]
	v_fma_f64 v[28:29], -v[22:23], v[24:25], 1.0
	v_fma_f64 v[24:25], v[24:25], v[28:29], v[24:25]
	v_fma_f64 v[28:29], -v[22:23], v[24:25], 1.0
	v_fma_f64 v[24:25], v[24:25], v[28:29], v[24:25]
	v_div_scale_f64 v[28:29], vcc, v[44:45], v[16:17], v[44:45]
	buffer_store_dword v44, off, s[56:59], 0 offset:184 ; 4-byte Folded Spill
	s_nop 0
	buffer_store_dword v45, off, s[56:59], 0 offset:188 ; 4-byte Folded Spill
	buffer_store_dword v46, off, s[56:59], 0 offset:344 ; 4-byte Folded Spill
	s_nop 0
	buffer_store_dword v47, off, s[56:59], 0 offset:348 ; 4-byte Folded Spill
	v_mul_f64 v[30:31], v[28:29], v[24:25]
	v_fma_f64 v[22:23], -v[22:23], v[30:31], v[28:29]
	v_div_fmas_f64 v[22:23], v[22:23], v[24:25], v[30:31]
	v_div_fixup_f64 v[16:17], v[22:23], v[16:17], v[44:45]
	v_mul_f64 v[8:9], v[8:9], v[46:47]
	v_div_scale_f64 v[12:13], s[4:5], v[8:9], v[8:9], v[4:5]
	v_rcp_f64_e32 v[22:23], v[12:13]
	v_fma_f64 v[24:25], -v[12:13], v[22:23], 1.0
	v_fma_f64 v[22:23], v[22:23], v[24:25], v[22:23]
	v_fma_f64 v[24:25], -v[12:13], v[22:23], 1.0
	v_fma_f64 v[22:23], v[22:23], v[24:25], v[22:23]
	v_div_scale_f64 v[24:25], vcc, v[4:5], v[8:9], v[4:5]
	v_mul_f64 v[28:29], v[24:25], v[22:23]
	v_fma_f64 v[12:13], -v[12:13], v[28:29], v[24:25]
	s_nop 1
	v_div_fmas_f64 v[12:13], v[12:13], v[22:23], v[28:29]
	v_div_fixup_f64 v[4:5], v[12:13], v[8:9], v[4:5]
	v_add_f64 v[4:5], v[16:17], -v[4:5]
	v_mul_f64 v[4:5], v[4:5], s[2:3]
	v_fma_f64 v[4:5], v[18:19], s[2:3], v[4:5]
	v_fma_f64 v[4:5], v[38:39], v[14:15], v[4:5]
	;; [unrolled: 1-line block ×3, first 2 shown]
	v_mul_f64 v[2:3], v[26:27], v[2:3]
	v_div_scale_f64 v[4:5], s[2:3], v[0:1], v[0:1], v[2:3]
	s_mov_b32 s2, 0xe2308c3a
	s_mov_b32 s3, 0x3e45798e
	v_rcp_f64_e32 v[8:9], v[4:5]
	v_fma_f64 v[12:13], -v[4:5], v[8:9], 1.0
	v_fma_f64 v[8:9], v[8:9], v[12:13], v[8:9]
	v_fma_f64 v[12:13], -v[4:5], v[8:9], 1.0
	v_fma_f64 v[8:9], v[8:9], v[12:13], v[8:9]
	v_div_scale_f64 v[12:13], vcc, v[2:3], v[0:1], v[2:3]
	buffer_store_dword v0, off, s[56:59], 0 offset:192 ; 4-byte Folded Spill
	s_nop 0
	buffer_store_dword v1, off, s[56:59], 0 offset:196 ; 4-byte Folded Spill
	v_mul_f64 v[14:15], v[12:13], v[8:9]
	v_fma_f64 v[4:5], -v[4:5], v[14:15], v[12:13]
	v_div_fmas_f64 v[4:5], v[4:5], v[8:9], v[14:15]
	v_div_fixup_f64 v[2:3], v[4:5], v[0:1], v[2:3]
                                        ; implicit-def: $vgpr0_vgpr1
                                        ; kill: killed $vgpr0_vgpr1
	v_cmp_ngt_f64_e64 s[2:3], |v[2:3]|, s[2:3]
	s_and_saveexec_b64 s[4:5], s[2:3]
	s_xor_b64 s[2:3], exec, s[4:5]
	s_cbranch_execz .LBB0_75
; %bb.74:
	v_mul_f64 v[0:1], s[16:17], v[6:7]
                                        ; implicit-def: $vgpr2_vgpr3
                                        ; implicit-def: $vgpr6_vgpr7
	buffer_store_dword v0, off, s[56:59], 0 offset:512 ; 4-byte Folded Spill
	s_nop 0
	buffer_store_dword v1, off, s[56:59], 0 offset:516 ; 4-byte Folded Spill
.LBB0_75:
	s_or_saveexec_b64 s[4:5], s[2:3]
	buffer_load_dword v4, off, s[56:59], 0 offset:104 ; 4-byte Folded Reload
	buffer_load_dword v5, off, s[56:59], 0 offset:108 ; 4-byte Folded Reload
	s_waitcnt vmcnt(0)
	v_mul_f64 v[0:1], v[4:5], v[10:11]
	buffer_store_dword v0, off, s[56:59], 0 offset:472 ; 4-byte Folded Spill
	s_nop 0
	buffer_store_dword v1, off, s[56:59], 0 offset:476 ; 4-byte Folded Spill
	s_xor_b64 exec, exec, s[4:5]
	s_cbranch_execz .LBB0_77
; %bb.76:
	v_mul_f64 v[4:5], s[16:17], v[2:3]
	s_mov_b32 s2, 0x652b82fe
	s_mov_b32 s3, 0x3ff71547
	v_mov_b32_e32 v12, 0xfca7ab0c
	v_mov_b32_e32 v13, 0x3e928af3
	s_mov_b32 s6, 0
	s_mov_b32 s7, 0xc090cc00
	v_mul_f64 v[8:9], v[4:5], s[2:3]
	s_mov_b32 s2, 0xfefa39ef
	s_mov_b32 s3, 0xbfe62e42
	v_rndne_f64_e32 v[8:9], v[8:9]
	v_fma_f64 v[10:11], v[8:9], s[2:3], v[4:5]
	s_mov_b32 s2, 0x3b39803f
	s_mov_b32 s3, 0xbc7abc9e
	v_fma_f64 v[10:11], v[8:9], s[2:3], v[10:11]
	s_mov_b32 s2, 0x6a5dcb37
	s_mov_b32 s3, 0x3e5ade15
	v_cvt_i32_f64_e32 v8, v[8:9]
	v_fma_f64 v[12:13], v[10:11], s[2:3], v[12:13]
	s_mov_b32 s2, 0x623fde64
	s_mov_b32 s3, 0x3ec71dee
	v_fma_f64 v[12:13], v[10:11], v[12:13], s[2:3]
	s_mov_b32 s2, 0x7c89e6b0
	s_mov_b32 s3, 0x3efa0199
	;; [unrolled: 3-line block ×9, first 2 shown]
	v_cmp_nlt_f64_e32 vcc, s[2:3], v[4:5]
	v_cmp_ngt_f64_e64 s[2:3], s[6:7], v[4:5]
	v_fma_f64 v[12:13], v[10:11], v[12:13], 1.0
	v_fma_f64 v[10:11], v[10:11], v[12:13], 1.0
	v_ldexp_f64 v[8:9], v[10:11], v8
	v_mov_b32_e32 v10, 0x7ff00000
	v_mov_b32_e32 v11, 0xbff00000
	v_add_f64 v[8:9], v[8:9], -1.0
	v_cndmask_b32_e32 v9, v10, v9, vcc
	s_and_b64 vcc, s[2:3], vcc
	v_cndmask_b32_e64 v5, v11, v9, s[2:3]
	v_cndmask_b32_e32 v4, 0, v8, vcc
	v_mul_f64 v[4:5], v[4:5], v[6:7]
	v_div_scale_f64 v[6:7], s[2:3], v[2:3], v[2:3], v[4:5]
	v_div_scale_f64 v[12:13], vcc, v[4:5], v[2:3], v[4:5]
	v_rcp_f64_e32 v[8:9], v[6:7]
	v_fma_f64 v[10:11], -v[6:7], v[8:9], 1.0
	v_fma_f64 v[8:9], v[8:9], v[10:11], v[8:9]
	v_fma_f64 v[10:11], -v[6:7], v[8:9], 1.0
	v_fma_f64 v[8:9], v[8:9], v[10:11], v[8:9]
	v_mul_f64 v[10:11], v[12:13], v[8:9]
	v_fma_f64 v[6:7], -v[6:7], v[10:11], v[12:13]
	v_div_fmas_f64 v[6:7], v[6:7], v[8:9], v[10:11]
	v_div_fixup_f64 v[0:1], v[6:7], v[2:3], v[4:5]
	buffer_store_dword v0, off, s[56:59], 0 offset:512 ; 4-byte Folded Spill
	s_nop 0
	buffer_store_dword v1, off, s[56:59], 0 offset:516 ; 4-byte Folded Spill
.LBB0_77:
	s_or_b64 exec, exec, s[4:5]
	buffer_load_dword v30, off, s[56:59], 0 offset:96 ; 4-byte Folded Reload
	buffer_load_dword v31, off, s[56:59], 0 offset:100 ; 4-byte Folded Reload
	;; [unrolled: 1-line block ×4, first 2 shown]
	s_mov_b32 s40, 0x55555555
	s_mov_b32 s41, 0x3fe55555
	;; [unrolled: 1-line block ×18, first 2 shown]
	buffer_load_dword v52, off, s[56:59], 0 offset:224 ; 4-byte Folded Reload
	buffer_load_dword v53, off, s[56:59], 0 offset:228 ; 4-byte Folded Reload
	;; [unrolled: 1-line block ×4, first 2 shown]
	s_movk_i32 s33, 0x204
	v_mov_b32_e32 v26, v42
	v_mov_b32_e32 v27, v43
	s_mov_b32 s4, 0x652b82fe
	s_mov_b32 s5, 0x3ff71547
	;; [unrolled: 1-line block ×12, first 2 shown]
	buffer_load_dword v50, off, s[56:59], 0 offset:232 ; 4-byte Folded Reload
	buffer_load_dword v51, off, s[56:59], 0 offset:236 ; 4-byte Folded Reload
	s_waitcnt vmcnt(6)
	v_div_scale_f64 v[2:3], s[2:3], v[30:31], v[30:31], v[24:25]
	s_mov_b32 s2, 0x6b47b09a
	s_mov_b32 s3, 0x3fc38538
	v_rcp_f64_e32 v[4:5], v[2:3]
	v_fma_f64 v[6:7], -v[2:3], v[4:5], 1.0
	v_fma_f64 v[4:5], v[4:5], v[6:7], v[4:5]
	v_fma_f64 v[6:7], -v[2:3], v[4:5], 1.0
	v_fma_f64 v[4:5], v[4:5], v[6:7], v[4:5]
	v_div_scale_f64 v[6:7], vcc, v[24:25], v[30:31], v[24:25]
	v_mul_f64 v[8:9], v[6:7], v[4:5]
	v_fma_f64 v[2:3], -v[2:3], v[8:9], v[6:7]
	s_nop 1
	v_div_fmas_f64 v[2:3], v[2:3], v[4:5], v[8:9]
	v_div_fixup_f64 v[4:5], v[2:3], v[30:31], v[24:25]
	v_frexp_mant_f64_e32 v[2:3], v[4:5]
	v_frexp_exp_i32_f64_e32 v6, v[4:5]
	v_cmp_gt_f64_e32 vcc, s[40:41], v[2:3]
	v_cndmask_b32_e64 v7, 0, 1, vcc
	v_ldexp_f64 v[2:3], v[2:3], v7
	v_subbrev_co_u32_e32 v18, vcc, 0, v6, vcc
	v_cmp_class_f64_e64 vcc, v[4:5], s33
	v_add_f64 v[8:9], v[2:3], 1.0
	v_add_f64 v[6:7], v[2:3], -1.0
	v_add_f64 v[10:11], v[8:9], -1.0
	v_add_f64 v[2:3], v[2:3], -v[10:11]
	v_rcp_f64_e32 v[10:11], v[8:9]
	v_fma_f64 v[12:13], -v[8:9], v[10:11], 1.0
	v_fma_f64 v[10:11], v[12:13], v[10:11], v[10:11]
	v_fma_f64 v[12:13], -v[8:9], v[10:11], 1.0
	v_fma_f64 v[10:11], v[12:13], v[10:11], v[10:11]
	v_mul_f64 v[12:13], v[6:7], v[10:11]
	v_mul_f64 v[14:15], v[8:9], v[12:13]
	v_fma_f64 v[8:9], v[12:13], v[8:9], -v[14:15]
	v_fma_f64 v[2:3], v[12:13], v[2:3], v[8:9]
	v_add_f64 v[8:9], v[14:15], v[2:3]
	v_add_f64 v[16:17], v[6:7], -v[8:9]
	v_add_f64 v[14:15], v[8:9], -v[14:15]
	;; [unrolled: 1-line block ×4, first 2 shown]
	v_mov_b32_e32 v15, s3
	v_mov_b32_e32 v14, s2
	v_add_f64 v[6:7], v[6:7], -v[8:9]
	v_add_f64 v[2:3], v[2:3], v[6:7]
	v_add_f64 v[2:3], v[16:17], v[2:3]
	v_mul_f64 v[2:3], v[10:11], v[2:3]
	v_add_f64 v[6:7], v[12:13], v[2:3]
	v_add_f64 v[8:9], v[6:7], -v[12:13]
	v_ldexp_f64 v[12:13], v[6:7], 1
	v_add_f64 v[2:3], v[2:3], -v[8:9]
	v_mul_f64 v[8:9], v[6:7], v[6:7]
	v_ldexp_f64 v[2:3], v[2:3], 1
	v_fma_f64 v[10:11], v[8:9], s[42:43], v[14:15]
	v_mul_f64 v[6:7], v[6:7], v[8:9]
	v_fma_f64 v[10:11], v[8:9], v[10:11], s[44:45]
	v_fma_f64 v[10:11], v[8:9], v[10:11], s[46:47]
	;; [unrolled: 1-line block ×5, first 2 shown]
	v_mul_f64 v[6:7], v[6:7], v[10:11]
	v_add_f64 v[10:11], v[12:13], v[6:7]
	v_add_f64 v[8:9], v[10:11], -v[12:13]
	v_add_f64 v[6:7], v[6:7], -v[8:9]
	v_add_f64 v[2:3], v[2:3], v[6:7]
	v_add_f64 v[8:9], v[10:11], v[2:3]
	v_add_f64 v[6:7], v[8:9], -v[10:11]
	v_add_f64 v[6:7], v[2:3], -v[6:7]
	v_cvt_f64_i32_e32 v[2:3], v18
	v_mul_f64 v[10:11], v[2:3], s[38:39]
	v_fma_f64 v[12:13], v[2:3], s[38:39], -v[10:11]
	v_fma_f64 v[2:3], v[2:3], s[54:55], v[12:13]
	v_add_f64 v[12:13], v[10:11], v[2:3]
	v_add_f64 v[10:11], v[12:13], -v[10:11]
	v_add_f64 v[2:3], v[2:3], -v[10:11]
	v_add_f64 v[10:11], v[12:13], v[8:9]
	v_add_f64 v[16:17], v[10:11], -v[12:13]
	v_add_f64 v[18:19], v[10:11], -v[16:17]
	;; [unrolled: 1-line block ×4, first 2 shown]
	v_add_f64 v[8:9], v[8:9], v[12:13]
	v_add_f64 v[12:13], v[2:3], v[6:7]
	v_add_f64 v[16:17], v[12:13], -v[2:3]
	v_add_f64 v[18:19], v[12:13], -v[16:17]
	v_add_f64 v[6:7], v[6:7], -v[16:17]
	v_mov_b32_e32 v16, 0x7ff80000
	v_mov_b32_e32 v17, 0xfff00000
	v_add_f64 v[2:3], v[2:3], -v[18:19]
	v_add_f64 v[2:3], v[6:7], v[2:3]
	v_add_f64 v[6:7], v[12:13], v[8:9]
	;; [unrolled: 1-line block ×3, first 2 shown]
	v_add_f64 v[10:11], v[8:9], -v[10:11]
	v_add_f64 v[6:7], v[6:7], -v[10:11]
	v_add_f64 v[2:3], v[2:3], v[6:7]
	v_add_f64 v[2:3], v[8:9], v[2:3]
	v_cndmask_b32_e32 v2, v2, v4, vcc
	v_cndmask_b32_e32 v3, v3, v5, vcc
	v_cmp_ngt_f64_e32 vcc, 0, v[4:5]
	v_cndmask_b32_e32 v3, v16, v3, vcc
	v_cmp_nge_f64_e32 vcc, 0, v[4:5]
	v_cndmask_b32_e32 v2, 0, v2, vcc
	v_cmp_neq_f64_e32 vcc, 0, v[4:5]
	v_cndmask_b32_e32 v3, v17, v3, vcc
	s_waitcnt vmcnt(4)
	v_mul_f64 v[2:3], v[52:53], v[2:3]
	s_waitcnt vmcnt(2)
	v_div_scale_f64 v[4:5], s[2:3], v[20:21], v[20:21], v[2:3]
	s_mov_b32 s2, 0x41ed2a05
	s_mov_b32 s3, 0xbfc56799
	v_rcp_f64_e32 v[6:7], v[4:5]
	v_fma_f64 v[8:9], -v[4:5], v[6:7], 1.0
	v_fma_f64 v[6:7], v[6:7], v[8:9], v[6:7]
	v_fma_f64 v[8:9], -v[4:5], v[6:7], 1.0
	v_fma_f64 v[6:7], v[6:7], v[8:9], v[6:7]
	v_div_scale_f64 v[8:9], vcc, v[2:3], v[20:21], v[2:3]
	v_mul_f64 v[10:11], v[8:9], v[6:7]
	v_fma_f64 v[4:5], -v[4:5], v[10:11], v[8:9]
	s_nop 1
	v_div_fmas_f64 v[4:5], v[4:5], v[6:7], v[10:11]
	v_mul_f64 v[6:7], v[26:27], s[2:3]
	s_mov_b32 s2, 0xfca7ab0c
	s_mov_b32 s3, 0x3e928af3
	v_mul_f64 v[8:9], v[6:7], s[4:5]
	v_cmp_nlt_f64_e32 vcc, s[6:7], v[6:7]
	v_div_fixup_f64 v[4:5], v[4:5], v[20:21], v[2:3]
	v_rndne_f64_e32 v[10:11], v[8:9]
	v_add_f64 v[62:63], v[26:27], -v[4:5]
	v_fma_f64 v[8:9], v[10:11], s[8:9], v[6:7]
	s_waitcnt vmcnt(0)
	v_mul_f64 v[2:3], v[50:51], v[62:63]
	v_fma_f64 v[12:13], v[10:11], s[12:13], v[8:9]
	v_mov_b32_e32 v9, s3
	v_mov_b32_e32 v8, s2
	v_cvt_i32_f64_e32 v10, v[10:11]
	v_cmp_ngt_f64_e64 s[2:3], s[10:11], v[6:7]
	v_fma_f64 v[18:19], v[12:13], s[18:19], v[8:9]
	v_fma_f64 v[18:19], v[12:13], v[18:19], s[20:21]
	;; [unrolled: 1-line block ×9, first 2 shown]
	v_fma_f64 v[18:19], v[12:13], v[18:19], 1.0
	v_fma_f64 v[12:13], v[12:13], v[18:19], 1.0
	v_mov_b32_e32 v18, 0x7ff00000
	v_ldexp_f64 v[10:11], v[12:13], v10
	v_cndmask_b32_e32 v11, v18, v11, vcc
	s_and_b64 vcc, s[2:3], vcc
	v_cndmask_b32_e32 v0, 0, v10, vcc
	v_cndmask_b32_e64 v1, 0, v11, s[2:3]
	buffer_store_dword v0, off, s[56:59], 0 offset:480 ; 4-byte Folded Spill
	s_nop 0
	buffer_store_dword v1, off, s[56:59], 0 offset:484 ; 4-byte Folded Spill
	s_mov_b32 s2, 0xe01dcc3
	s_mov_b32 s3, 0x405059ef
	v_fma_f64 v[0:1], v[0:1], s[2:3], 1.0
	buffer_store_dword v0, off, s[56:59], 0 offset:488 ; 4-byte Folded Spill
	s_nop 0
	buffer_store_dword v1, off, s[56:59], 0 offset:492 ; 4-byte Folded Spill
	v_div_scale_f64 v[6:7], s[2:3], v[0:1], v[0:1], v[2:3]
	v_rcp_f64_e32 v[10:11], v[6:7]
	v_fma_f64 v[22:23], -v[6:7], v[10:11], 1.0
	v_fma_f64 v[10:11], v[10:11], v[22:23], v[10:11]
	v_fma_f64 v[22:23], -v[6:7], v[10:11], 1.0
	v_fma_f64 v[10:11], v[10:11], v[22:23], v[10:11]
	v_div_scale_f64 v[22:23], vcc, v[2:3], v[0:1], v[2:3]
	v_mul_f64 v[28:29], v[22:23], v[10:11]
	v_fma_f64 v[6:7], -v[6:7], v[28:29], v[22:23]
	s_nop 1
	v_div_fmas_f64 v[6:7], v[6:7], v[10:11], v[28:29]
	v_div_fixup_f64 v[42:43], v[6:7], v[0:1], v[2:3]
	buffer_load_dword v0, off, s[56:59], 0 offset:272 ; 4-byte Folded Reload
	buffer_load_dword v1, off, s[56:59], 0 offset:276 ; 4-byte Folded Reload
	s_waitcnt vmcnt(0)
	v_mul_f64 v[2:3], v[0:1], v[62:63]
	buffer_load_dword v0, off, s[56:59], 0 offset:280 ; 4-byte Folded Reload
	buffer_load_dword v1, off, s[56:59], 0 offset:284 ; 4-byte Folded Reload
	s_waitcnt vmcnt(0)
	v_mul_f64 v[44:45], v[0:1], v[2:3]
	buffer_load_dword v6, off, s[56:59], 0 offset:464 ; 4-byte Folded Reload
	buffer_load_dword v7, off, s[56:59], 0 offset:468 ; 4-byte Folded Reload
	;; [unrolled: 1-line block ×6, first 2 shown]
	s_waitcnt vmcnt(2)
	v_fma_f64 v[2:3], v[6:7], v[2:3], v[24:25]
	s_waitcnt vmcnt(0)
	v_fma_f64 v[0:1], v[10:11], v[6:7], v[30:31]
	v_mov_b32_e32 v13, v11
	v_mov_b32_e32 v12, v10
	v_div_scale_f64 v[6:7], s[2:3], v[0:1], v[0:1], v[2:3]
	v_rcp_f64_e32 v[10:11], v[6:7]
	v_fma_f64 v[22:23], -v[6:7], v[10:11], 1.0
	v_fma_f64 v[10:11], v[10:11], v[22:23], v[10:11]
	v_fma_f64 v[22:23], -v[6:7], v[10:11], 1.0
	v_fma_f64 v[10:11], v[10:11], v[22:23], v[10:11]
	v_div_scale_f64 v[22:23], vcc, v[2:3], v[0:1], v[2:3]
	buffer_store_dword v0, off, s[56:59], 0 offset:176 ; 4-byte Folded Spill
	s_nop 0
	buffer_store_dword v1, off, s[56:59], 0 offset:180 ; 4-byte Folded Spill
	v_mul_f64 v[28:29], v[22:23], v[10:11]
	v_fma_f64 v[6:7], -v[6:7], v[28:29], v[22:23]
	v_div_fmas_f64 v[6:7], v[6:7], v[10:11], v[28:29]
	v_div_fixup_f64 v[6:7], v[6:7], v[0:1], v[2:3]
	v_frexp_mant_f64_e32 v[2:3], v[6:7]
	v_frexp_exp_i32_f64_e32 v10, v[6:7]
	v_cmp_gt_f64_e32 vcc, s[40:41], v[2:3]
	v_cndmask_b32_e64 v11, 0, 1, vcc
	v_ldexp_f64 v[2:3], v[2:3], v11
	v_subbrev_co_u32_e32 v19, vcc, 0, v10, vcc
	v_cmp_class_f64_e64 vcc, v[6:7], s33
	v_add_f64 v[22:23], v[2:3], 1.0
	v_add_f64 v[10:11], v[2:3], -1.0
	v_add_f64 v[28:29], v[22:23], -1.0
	v_add_f64 v[2:3], v[2:3], -v[28:29]
	v_rcp_f64_e32 v[28:29], v[22:23]
	v_fma_f64 v[30:31], -v[22:23], v[28:29], 1.0
	v_fma_f64 v[28:29], v[30:31], v[28:29], v[28:29]
	v_fma_f64 v[30:31], -v[22:23], v[28:29], 1.0
	v_fma_f64 v[28:29], v[30:31], v[28:29], v[28:29]
	v_mul_f64 v[30:31], v[10:11], v[28:29]
	v_mul_f64 v[34:35], v[22:23], v[30:31]
	v_fma_f64 v[22:23], v[30:31], v[22:23], -v[34:35]
	v_fma_f64 v[2:3], v[30:31], v[2:3], v[22:23]
	v_add_f64 v[22:23], v[34:35], v[2:3]
	v_add_f64 v[36:37], v[10:11], -v[22:23]
	v_add_f64 v[34:35], v[22:23], -v[34:35]
	;; [unrolled: 1-line block ×5, first 2 shown]
	v_add_f64 v[2:3], v[2:3], v[10:11]
	v_add_f64 v[2:3], v[36:37], v[2:3]
	v_mul_f64 v[2:3], v[28:29], v[2:3]
	v_add_f64 v[10:11], v[30:31], v[2:3]
	v_add_f64 v[22:23], v[10:11], -v[30:31]
	v_ldexp_f64 v[28:29], v[10:11], 1
	v_add_f64 v[2:3], v[2:3], -v[22:23]
	v_mul_f64 v[22:23], v[10:11], v[10:11]
	v_ldexp_f64 v[2:3], v[2:3], 1
	v_fma_f64 v[14:15], v[22:23], s[42:43], v[14:15]
	v_mul_f64 v[10:11], v[10:11], v[22:23]
	v_fma_f64 v[14:15], v[22:23], v[14:15], s[44:45]
	v_fma_f64 v[14:15], v[22:23], v[14:15], s[46:47]
	;; [unrolled: 1-line block ×5, first 2 shown]
	v_mul_f64 v[10:11], v[10:11], v[14:15]
	v_add_f64 v[14:15], v[28:29], v[10:11]
	v_add_f64 v[22:23], v[14:15], -v[28:29]
	v_add_f64 v[10:11], v[10:11], -v[22:23]
	v_add_f64 v[2:3], v[2:3], v[10:11]
	v_add_f64 v[10:11], v[14:15], v[2:3]
	v_add_f64 v[14:15], v[10:11], -v[14:15]
	v_add_f64 v[2:3], v[2:3], -v[14:15]
	v_cvt_f64_i32_e32 v[14:15], v19
	v_mul_f64 v[22:23], v[14:15], s[38:39]
	v_fma_f64 v[28:29], v[14:15], s[38:39], -v[22:23]
	v_fma_f64 v[14:15], v[14:15], s[54:55], v[28:29]
	v_add_f64 v[28:29], v[22:23], v[14:15]
	v_add_f64 v[22:23], v[28:29], -v[22:23]
	v_add_f64 v[14:15], v[14:15], -v[22:23]
	v_add_f64 v[22:23], v[28:29], v[10:11]
	v_add_f64 v[30:31], v[22:23], -v[28:29]
	v_add_f64 v[34:35], v[22:23], -v[30:31]
	;; [unrolled: 1-line block ×4, first 2 shown]
	v_add_f64 v[10:11], v[10:11], v[28:29]
	v_add_f64 v[28:29], v[14:15], v[2:3]
	v_add_f64 v[30:31], v[28:29], -v[14:15]
	v_add_f64 v[10:11], v[28:29], v[10:11]
	v_add_f64 v[34:35], v[28:29], -v[30:31]
	v_add_f64 v[2:3], v[2:3], -v[30:31]
	;; [unrolled: 1-line block ×3, first 2 shown]
	v_add_f64 v[2:3], v[2:3], v[14:15]
	v_add_f64 v[14:15], v[22:23], v[10:11]
	v_add_f64 v[22:23], v[14:15], -v[22:23]
	v_add_f64 v[10:11], v[10:11], -v[22:23]
	v_add_f64 v[2:3], v[2:3], v[10:11]
	buffer_load_dword v10, off, s[56:59], 0 offset:168 ; 4-byte Folded Reload
	buffer_load_dword v11, off, s[56:59], 0 offset:172 ; 4-byte Folded Reload
	v_add_f64 v[2:3], v[14:15], v[2:3]
	v_cndmask_b32_e32 v2, v2, v6, vcc
	v_cndmask_b32_e32 v3, v3, v7, vcc
	v_cmp_ngt_f64_e32 vcc, 0, v[6:7]
	v_cndmask_b32_e32 v3, v16, v3, vcc
	v_cmp_nge_f64_e32 vcc, 0, v[6:7]
	v_cndmask_b32_e32 v2, 0, v2, vcc
	v_cmp_neq_f64_e32 vcc, 0, v[6:7]
	v_cndmask_b32_e32 v3, v17, v3, vcc
	v_mul_f64 v[2:3], v[52:53], v[2:3]
	v_div_scale_f64 v[6:7], s[2:3], v[20:21], v[20:21], v[2:3]
	s_mov_b32 s2, 0xeb851eb8
	s_mov_b32 s3, 0x3faeb851
	s_waitcnt vmcnt(0)
	v_mul_f64 v[0:1], v[10:11], v[10:11]
	buffer_store_dword v0, off, s[56:59], 0 offset:464 ; 4-byte Folded Spill
	s_nop 0
	buffer_store_dword v1, off, s[56:59], 0 offset:468 ; 4-byte Folded Spill
	buffer_load_dword v10, off, s[56:59], 0 offset:240 ; 4-byte Folded Reload
	buffer_load_dword v11, off, s[56:59], 0 offset:244 ; 4-byte Folded Reload
	s_waitcnt vmcnt(0)
	v_mul_f64 v[28:29], v[0:1], v[10:11]
	v_rcp_f64_e32 v[10:11], v[6:7]
	v_fma_f64 v[14:15], -v[6:7], v[10:11], 1.0
	v_fma_f64 v[10:11], v[10:11], v[14:15], v[10:11]
	v_fma_f64 v[14:15], -v[6:7], v[10:11], 1.0
	v_fma_f64 v[10:11], v[10:11], v[14:15], v[10:11]
	v_div_scale_f64 v[14:15], vcc, v[2:3], v[20:21], v[2:3]
	v_mul_f64 v[16:17], v[14:15], v[10:11]
	v_fma_f64 v[6:7], -v[6:7], v[16:17], v[14:15]
	s_nop 1
	v_div_fmas_f64 v[6:7], v[6:7], v[10:11], v[16:17]
	v_div_fixup_f64 v[2:3], v[6:7], v[20:21], v[2:3]
	v_add_f64 v[32:33], v[26:27], -v[2:3]
	v_mul_f64 v[2:3], v[4:5], s[2:3]
	v_fma_f64 v[2:3], v[26:27], s[2:3], -v[2:3]
	v_mul_f64 v[6:7], v[2:3], s[4:5]
	v_cmp_nlt_f64_e32 vcc, s[6:7], v[2:3]
	v_cmp_ngt_f64_e64 s[2:3], s[10:11], v[2:3]
	v_rndne_f64_e32 v[6:7], v[6:7]
	v_fma_f64 v[10:11], v[6:7], s[8:9], v[2:3]
	v_fma_f64 v[10:11], v[6:7], s[12:13], v[10:11]
	v_cvt_i32_f64_e32 v6, v[6:7]
	v_fma_f64 v[14:15], v[10:11], s[18:19], v[8:9]
	v_fma_f64 v[14:15], v[10:11], v[14:15], s[20:21]
	;; [unrolled: 1-line block ×9, first 2 shown]
	v_fma_f64 v[14:15], v[10:11], v[14:15], 1.0
	v_fma_f64 v[10:11], v[10:11], v[14:15], 1.0
	v_ldexp_f64 v[6:7], v[10:11], v6
	v_cndmask_b32_e32 v7, v18, v7, vcc
	s_and_b64 vcc, s[2:3], vcc
	v_cndmask_b32_e64 v17, 0, v7, s[2:3]
	s_mov_b32 s2, 0x3b43bc8b
	v_cndmask_b32_e32 v16, 0, v6, vcc
	s_mov_b32 s3, 0x3ed9c54c
	v_fma_f64 v[22:23], v[16:17], s[2:3], 1.0
	s_mov_b32 s2, 0x9999999a
	s_mov_b32 s3, 0x3fb99999
	v_div_scale_f64 v[2:3], s[38:39], v[22:23], v[22:23], s[2:3]
	v_rcp_f64_e32 v[6:7], v[2:3]
	v_fma_f64 v[10:11], -v[2:3], v[6:7], 1.0
	v_fma_f64 v[6:7], v[6:7], v[10:11], v[6:7]
	v_fma_f64 v[10:11], -v[2:3], v[6:7], 1.0
	v_fma_f64 v[6:7], v[6:7], v[10:11], v[6:7]
	v_div_scale_f64 v[10:11], vcc, s[2:3], v[22:23], s[2:3]
	v_mul_f64 v[14:15], v[10:11], v[6:7]
	v_fma_f64 v[2:3], -v[2:3], v[14:15], v[10:11]
	s_nop 1
	v_div_fmas_f64 v[2:3], v[2:3], v[6:7], v[14:15]
	v_div_fixup_f64 v[36:37], v[2:3], v[22:23], s[2:3]
	v_mul_f64 v[2:3], v[4:5], s[2:3]
	v_fma_f64 v[2:3], v[26:27], s[2:3], -v[2:3]
	v_mul_f64 v[6:7], v[2:3], s[4:5]
	v_cmp_nlt_f64_e32 vcc, s[6:7], v[2:3]
	v_cmp_ngt_f64_e64 s[2:3], s[10:11], v[2:3]
	v_rndne_f64_e32 v[6:7], v[6:7]
	v_fma_f64 v[10:11], v[6:7], s[8:9], v[2:3]
	v_fma_f64 v[10:11], v[6:7], s[12:13], v[10:11]
	v_cvt_i32_f64_e32 v6, v[6:7]
	v_fma_f64 v[14:15], v[10:11], s[18:19], v[8:9]
	v_fma_f64 v[14:15], v[10:11], v[14:15], s[20:21]
	;; [unrolled: 1-line block ×9, first 2 shown]
	v_fma_f64 v[14:15], v[10:11], v[14:15], 1.0
	v_fma_f64 v[10:11], v[10:11], v[14:15], 1.0
	v_ldexp_f64 v[6:7], v[10:11], v6
	v_cndmask_b32_e32 v7, v18, v7, vcc
	s_and_b64 vcc, s[2:3], vcc
	v_cndmask_b32_e64 v1, 0, v7, s[2:3]
	s_mov_b32 s2, 0xeb1c432d
	s_mov_b32 s3, 0x3f2a36e2
	v_mul_f64 v[2:3], v[4:5], s[2:3]
	v_cndmask_b32_e32 v0, 0, v6, vcc
	buffer_store_dword v0, off, s[56:59], 0 offset:528 ; 4-byte Folded Spill
	s_nop 0
	buffer_store_dword v1, off, s[56:59], 0 offset:532 ; 4-byte Folded Spill
	v_fma_f64 v[2:3], v[26:27], s[2:3], -v[2:3]
	v_mul_f64 v[6:7], v[2:3], s[4:5]
	v_cmp_nlt_f64_e32 vcc, s[6:7], v[2:3]
	v_cmp_ngt_f64_e64 s[2:3], s[10:11], v[2:3]
	v_rndne_f64_e32 v[6:7], v[6:7]
	v_fma_f64 v[10:11], v[6:7], s[8:9], v[2:3]
	v_fma_f64 v[10:11], v[6:7], s[12:13], v[10:11]
	v_cvt_i32_f64_e32 v6, v[6:7]
	v_fma_f64 v[14:15], v[10:11], s[18:19], v[8:9]
	v_fma_f64 v[14:15], v[10:11], v[14:15], s[20:21]
	;; [unrolled: 1-line block ×9, first 2 shown]
	v_fma_f64 v[14:15], v[10:11], v[14:15], 1.0
	v_fma_f64 v[10:11], v[10:11], v[14:15], 1.0
	v_ldexp_f64 v[6:7], v[10:11], v6
	v_cndmask_b32_e32 v7, v18, v7, vcc
	s_and_b64 vcc, s[2:3], vcc
	v_cndmask_b32_e64 v41, 0, v7, s[2:3]
	s_mov_b32 s2, 0xf5e201d1
	v_cndmask_b32_e32 v40, 0, v6, vcc
	s_mov_b32 s3, 0x40087c1d
	v_mul_f64 v[2:3], v[40:41], s[2:3]
	s_mov_b32 s2, 0x362cef32
	s_mov_b32 s3, 0x3fd78b56
	v_fma_f64 v[46:47], v[0:1], s[2:3], v[2:3]
	v_mul_f64 v[2:3], v[26:27], 0.5
	v_fma_f64 v[2:3], v[4:5], 0.5, -v[2:3]
	v_mul_f64 v[4:5], v[2:3], s[4:5]
	v_cmp_nlt_f64_e32 vcc, s[6:7], v[2:3]
	v_cmp_ngt_f64_e64 s[2:3], s[10:11], v[2:3]
	s_mov_b32 s4, 0
	s_brev_b32 s5, 8
	v_rndne_f64_e32 v[4:5], v[4:5]
	v_fma_f64 v[6:7], v[4:5], s[8:9], v[2:3]
	v_fma_f64 v[6:7], v[4:5], s[12:13], v[6:7]
	v_cvt_i32_f64_e32 v4, v[4:5]
	v_fma_f64 v[8:9], v[6:7], s[18:19], v[8:9]
	v_fma_f64 v[8:9], v[6:7], v[8:9], s[20:21]
	;; [unrolled: 1-line block ×9, first 2 shown]
	v_fma_f64 v[8:9], v[6:7], v[8:9], 1.0
	v_fma_f64 v[6:7], v[6:7], v[8:9], 1.0
	v_ldexp_f64 v[4:5], v[6:7], v4
	v_cndmask_b32_e32 v5, v18, v5, vcc
	s_and_b64 vcc, s[2:3], vcc
	v_cndmask_b32_e32 v48, 0, v4, vcc
	v_cndmask_b32_e64 v49, 0, v5, s[2:3]
	v_add_f64 v[4:5], v[48:49], 1.0
	v_div_scale_f64 v[2:3], s[2:3], v[4:5], v[4:5], v[46:47]
	v_rcp_f64_e32 v[6:7], v[2:3]
	v_fma_f64 v[8:9], -v[2:3], v[6:7], 1.0
	v_fma_f64 v[6:7], v[6:7], v[8:9], v[6:7]
	v_fma_f64 v[8:9], -v[2:3], v[6:7], 1.0
	v_fma_f64 v[6:7], v[6:7], v[8:9], v[6:7]
	v_div_scale_f64 v[8:9], vcc, v[46:47], v[4:5], v[46:47]
	v_mul_f64 v[10:11], v[8:9], v[6:7]
	v_fma_f64 v[2:3], -v[2:3], v[10:11], v[8:9]
	s_nop 1
	v_div_fmas_f64 v[2:3], v[2:3], v[6:7], v[10:11]
	v_div_fixup_f64 v[2:3], v[2:3], v[4:5], v[46:47]
	v_add_f64 v[10:11], v[36:37], v[2:3]
	v_div_scale_f64 v[2:3], s[2:3], v[10:11], v[10:11], v[36:37]
	s_mov_b32 s2, 0xf62f0be
	s_mov_b32 s3, 0x3fdb8a8d
	v_rcp_f64_e32 v[6:7], v[2:3]
	v_fma_f64 v[8:9], -v[2:3], v[6:7], 1.0
	v_fma_f64 v[6:7], v[6:7], v[8:9], v[6:7]
	v_fma_f64 v[8:9], -v[2:3], v[6:7], 1.0
	v_fma_f64 v[6:7], v[6:7], v[8:9], v[6:7]
	v_div_scale_f64 v[8:9], vcc, v[36:37], v[10:11], v[36:37]
	v_mul_f64 v[14:15], v[8:9], v[6:7]
	v_fma_f64 v[2:3], -v[2:3], v[14:15], v[8:9]
	s_nop 1
	v_div_fmas_f64 v[2:3], v[2:3], v[6:7], v[14:15]
	v_cmp_gt_f64_e32 vcc, s[4:5], v[24:25]
	v_mov_b32_e32 v6, 0x100
	s_mov_b32 s4, 0x54aa4deb
	s_mov_b32 s5, 0x4025dfe9
	v_cndmask_b32_e32 v6, 0, v6, vcc
	v_ldexp_f64 v[6:7], v[24:25], v6
	v_div_fixup_f64 v[38:39], v[2:3], v[10:11], v[36:37]
	buffer_load_dword v2, off, s[56:59], 0 offset:456 ; 4-byte Folded Reload
	buffer_load_dword v3, off, s[56:59], 0 offset:460 ; 4-byte Folded Reload
	v_rsq_f64_e32 v[8:9], v[6:7]
	v_mul_f64 v[18:19], v[6:7], v[8:9]
	v_mul_f64 v[8:9], v[8:9], 0.5
	v_fma_f64 v[30:31], -v[8:9], v[18:19], 0.5
	v_fma_f64 v[18:19], v[18:19], v[30:31], v[18:19]
	v_fma_f64 v[8:9], v[8:9], v[30:31], v[8:9]
	v_fma_f64 v[34:35], -v[18:19], v[18:19], v[6:7]
	v_fma_f64 v[18:19], v[34:35], v[8:9], v[18:19]
	v_fma_f64 v[30:31], -v[18:19], v[18:19], v[6:7]
	v_fma_f64 v[8:9], v[30:31], v[8:9], v[18:19]
	v_mov_b32_e32 v18, 0xffffff80
	v_cndmask_b32_e32 v18, 0, v18, vcc
	v_ldexp_f64 v[8:9], v[8:9], v18
	v_mov_b32_e32 v18, 0x260
	v_cmp_class_f64_e32 vcc, v[6:7], v18
	s_waitcnt vmcnt(0)
	v_mul_f64 v[2:3], v[2:3], s[2:3]
	v_cndmask_b32_e32 v7, v9, v7, vcc
	v_cndmask_b32_e32 v6, v8, v6, vcc
	v_mul_f64 v[34:35], v[2:3], v[6:7]
	buffer_load_dword v2, off, s[56:59], 0 offset:448 ; 4-byte Folded Reload
	buffer_load_dword v3, off, s[56:59], 0 offset:452 ; 4-byte Folded Reload
	v_mul_f64 v[18:19], v[34:35], v[62:63]
	s_waitcnt vmcnt(0)
	v_mul_f64 v[2:3], v[2:3], s[2:3]
	v_mul_f64 v[0:1], v[2:3], v[6:7]
	buffer_store_dword v0, off, s[56:59], 0 offset:448 ; 4-byte Folded Spill
	s_nop 0
	buffer_store_dword v1, off, s[56:59], 0 offset:452 ; 4-byte Folded Spill
	buffer_load_dword v60, off, s[56:59], 0 offset:248 ; 4-byte Folded Reload
	buffer_load_dword v61, off, s[56:59], 0 offset:252 ; 4-byte Folded Reload
	v_mul_f64 v[2:3], v[0:1], v[62:63]
	buffer_load_dword v0, off, s[56:59], 0 offset:512 ; 4-byte Folded Reload
	buffer_load_dword v1, off, s[56:59], 0 offset:516 ; 4-byte Folded Reload
	buffer_load_dword v6, off, s[56:59], 0 offset:408 ; 4-byte Folded Reload
	buffer_load_dword v7, off, s[56:59], 0 offset:412 ; 4-byte Folded Reload
	s_waitcnt vmcnt(4)
	v_mul_f64 v[14:15], v[60:61], v[2:3]
	s_waitcnt vmcnt(2)
	v_add_f64 v[2:3], v[12:13], v[0:1]
	s_waitcnt vmcnt(0)
	global_store_dwordx2 v[6:7], v[2:3], off
	buffer_load_dword v12, off, s[56:59], 0 offset:440 ; 4-byte Folded Reload
	buffer_load_dword v13, off, s[56:59], 0 offset:444 ; 4-byte Folded Reload
	s_waitcnt vmcnt(0)
	v_div_scale_f64 v[2:3], s[2:3], v[12:13], v[12:13], s[14:15]
	v_rcp_f64_e32 v[6:7], v[2:3]
	v_fma_f64 v[24:25], -v[2:3], v[6:7], 1.0
	v_fma_f64 v[6:7], v[6:7], v[24:25], v[6:7]
	v_fma_f64 v[24:25], -v[2:3], v[6:7], 1.0
	v_fma_f64 v[6:7], v[6:7], v[24:25], v[6:7]
	v_div_scale_f64 v[24:25], vcc, s[14:15], v[12:13], s[14:15]
	v_mul_f64 v[30:31], v[24:25], v[6:7]
	v_fma_f64 v[2:3], -v[2:3], v[30:31], v[24:25]
	s_nop 1
	v_div_fmas_f64 v[2:3], v[2:3], v[6:7], v[30:31]
	v_div_fixup_f64 v[2:3], v[2:3], v[12:13], s[14:15]
	v_floor_f64_e32 v[2:3], v[2:3]
	v_fma_f64 v[2:3], -v[12:13], v[2:3], s[14:15]
	buffer_load_dword v6, off, s[56:59], 0 offset:424 ; 4-byte Folded Reload
	buffer_load_dword v7, off, s[56:59], 0 offset:428 ; 4-byte Folded Reload
	;; [unrolled: 1-line block ×4, first 2 shown]
	s_waitcnt vmcnt(0)
	v_add_f64 v[6:7], v[6:7], v[12:13]
	v_cmp_nge_f64_e64 s[2:3], v[2:3], v[12:13]
	v_cmp_nle_f64_e32 vcc, v[2:3], v[6:7]
	buffer_load_dword v6, off, s[56:59], 0 offset:416 ; 4-byte Folded Reload
	buffer_load_dword v7, off, s[56:59], 0 offset:420 ; 4-byte Folded Reload
	;; [unrolled: 1-line block ×4, first 2 shown]
	s_nop 0
	buffer_store_dword v14, off, s[56:59], 0 offset:424 ; 4-byte Folded Spill
	s_nop 0
	buffer_store_dword v15, off, s[56:59], 0 offset:428 ; 4-byte Folded Spill
	s_or_b64 s[2:3], vcc, s[2:3]
	s_waitcnt vmcnt(5)
	v_cndmask_b32_e64 v12, v6, 0, s[2:3]
	s_waitcnt vmcnt(4)
	v_xor_b32_e32 v2, 0x80000000, v7
	v_cndmask_b32_e64 v13, v2, 0, s[2:3]
	s_waitcnt vmcnt(2)
	v_fma_f64 v[2:3], -v[18:19], v[38:39], -v[0:1]
	buffer_load_dword v0, off, s[56:59], 0 offset:8 ; 4-byte Folded Reload
	buffer_load_dword v1, off, s[56:59], 0 offset:12 ; 4-byte Folded Reload
	s_nop 0
	buffer_store_dword v28, off, s[56:59], 0 offset:408 ; 4-byte Folded Spill
	s_nop 0
	buffer_store_dword v29, off, s[56:59], 0 offset:412 ; 4-byte Folded Spill
	buffer_store_dword v32, off, s[56:59], 0 offset:416 ; 4-byte Folded Spill
	s_nop 0
	buffer_store_dword v33, off, s[56:59], 0 offset:420 ; 4-byte Folded Spill
	s_mov_b32 s2, 0x85944719
	s_mov_b32 s3, 0x3e63cab9
	s_waitcnt vmcnt(4)
	v_fma_f64 v[2:3], -v[0:1], v[14:15], v[2:3]
	buffer_load_dword v0, off, s[56:59], 0 offset:496 ; 4-byte Folded Reload
	buffer_load_dword v1, off, s[56:59], 0 offset:500 ; 4-byte Folded Reload
	;; [unrolled: 1-line block ×4, first 2 shown]
	s_nop 0
	buffer_store_dword v58, off, s[56:59], 0 offset:168 ; 4-byte Folded Spill
	s_nop 0
	buffer_store_dword v59, off, s[56:59], 0 offset:172 ; 4-byte Folded Spill
	buffer_store_dword v12, off, s[56:59], 0 offset:368 ; 4-byte Folded Spill
	s_nop 0
	buffer_store_dword v13, off, s[56:59], 0 offset:372 ; 4-byte Folded Spill
	v_fma_f64 v[2:3], -v[28:29], v[32:33], v[2:3]
	s_waitcnt vmcnt(6)
	v_add_f64 v[2:3], v[2:3], -v[0:1]
	s_waitcnt vmcnt(4)
	v_add_f64 v[2:3], v[2:3], -v[6:7]
	buffer_load_dword v6, off, s[56:59], 0 offset:672 ; 4-byte Folded Reload
	buffer_load_dword v7, off, s[56:59], 0 offset:676 ; 4-byte Folded Reload
	;; [unrolled: 1-line block ×4, first 2 shown]
	v_add_f64 v[2:3], v[2:3], -v[58:59]
	v_add_f64 v[2:3], v[2:3], -v[12:13]
	s_waitcnt vmcnt(2)
	v_add_f64 v[2:3], v[2:3], -v[6:7]
	buffer_load_dword v6, off, s[56:59], 0 offset:680 ; 4-byte Folded Reload
	buffer_load_dword v7, off, s[56:59], 0 offset:684 ; 4-byte Folded Reload
	s_nop 0
	buffer_store_dword v42, off, s[56:59], 0 offset:296 ; 4-byte Folded Spill
	s_nop 0
	buffer_store_dword v43, off, s[56:59], 0 offset:300 ; 4-byte Folded Spill
	buffer_store_dword v44, off, s[56:59], 0 offset:320 ; 4-byte Folded Spill
	s_nop 0
	buffer_store_dword v45, off, s[56:59], 0 offset:324 ; 4-byte Folded Spill
	s_waitcnt vmcnt(6)
	v_add_f64 v[2:3], v[2:3], -v[0:1]
	buffer_load_dword v0, off, s[56:59], 0  ; 4-byte Folded Reload
	buffer_load_dword v1, off, s[56:59], 0 offset:4 ; 4-byte Folded Reload
	s_waitcnt vmcnt(6)
	v_add_f64 v[2:3], v[2:3], -v[6:7]
	v_mul_f64 v[6:7], v[22:23], v[22:23]
	v_add_f64 v[2:3], v[2:3], -v[42:43]
	s_waitcnt vmcnt(0)
	v_fma_f64 v[0:1], -v[0:1], v[44:45], v[2:3]
	v_mul_f64 v[2:3], v[16:17], s[2:3]
	buffer_store_dword v0, off, s[56:59], 0 offset:432 ; 4-byte Folded Spill
	s_nop 0
	buffer_store_dword v1, off, s[56:59], 0 offset:436 ; 4-byte Folded Spill
	v_div_scale_f64 v[16:17], s[2:3], v[6:7], v[6:7], v[2:3]
	buffer_load_dword v44, off, s[56:59], 0 offset:88 ; 4-byte Folded Reload
	buffer_load_dword v45, off, s[56:59], 0 offset:92 ; 4-byte Folded Reload
	;; [unrolled: 1-line block ×10, first 2 shown]
	v_rcp_f64_e32 v[22:23], v[16:17]
	v_fma_f64 v[30:31], -v[16:17], v[22:23], 1.0
	v_fma_f64 v[22:23], v[22:23], v[30:31], v[22:23]
	v_fma_f64 v[30:31], -v[16:17], v[22:23], 1.0
	v_fma_f64 v[22:23], v[22:23], v[30:31], v[22:23]
	v_div_scale_f64 v[30:31], vcc, v[2:3], v[6:7], v[2:3]
	v_mul_f64 v[32:33], v[30:31], v[22:23]
	v_fma_f64 v[16:17], -v[16:17], v[32:33], v[30:31]
	s_nop 1
	v_div_fmas_f64 v[16:17], v[16:17], v[22:23], v[32:33]
	buffer_load_dword v32, off, s[56:59], 0 offset:288 ; 4-byte Folded Reload
	buffer_load_dword v33, off, s[56:59], 0 offset:292 ; 4-byte Folded Reload
	v_div_fixup_f64 v[8:9], v[16:17], v[6:7], v[2:3]
	s_waitcnt vmcnt(8)
	v_mul_f64 v[2:3], v[44:45], v[0:1]
	buffer_load_dword v0, off, s[56:59], 0 offset:504 ; 4-byte Folded Reload
	buffer_load_dword v1, off, s[56:59], 0 offset:508 ; 4-byte Folded Reload
	s_waitcnt vmcnt(8)
	v_mul_f64 v[2:3], v[28:29], v[2:3]
	s_waitcnt vmcnt(6)
	v_mul_f64 v[2:3], v[14:15], v[2:3]
	;; [unrolled: 2-line block ×3, first 2 shown]
	v_div_scale_f64 v[6:7], s[2:3], v[54:55], v[54:55], v[2:3]
	v_rcp_f64_e32 v[16:17], v[6:7]
	v_fma_f64 v[22:23], -v[6:7], v[16:17], 1.0
	v_fma_f64 v[16:17], v[16:17], v[22:23], v[16:17]
	v_fma_f64 v[22:23], -v[6:7], v[16:17], 1.0
	v_fma_f64 v[16:17], v[16:17], v[22:23], v[16:17]
	v_div_scale_f64 v[22:23], vcc, v[2:3], v[54:55], v[2:3]
	v_mul_f64 v[30:31], v[22:23], v[16:17]
	v_fma_f64 v[6:7], -v[6:7], v[30:31], v[22:23]
	s_nop 1
	v_div_fmas_f64 v[6:7], v[6:7], v[16:17], v[30:31]
	s_waitcnt vmcnt(0)
	v_mul_f64 v[16:17], v[20:21], v[0:1]
	buffer_load_dword v0, off, s[56:59], 0 offset:336 ; 4-byte Folded Reload
	buffer_load_dword v1, off, s[56:59], 0 offset:340 ; 4-byte Folded Reload
	v_div_fixup_f64 v[2:3], v[6:7], v[54:55], v[2:3]
	v_ldexp_f64 v[6:7], v[32:33], 3
	v_mul_f64 v[6:7], v[6:7], v[16:17]
	s_waitcnt vmcnt(0)
	v_mul_f64 v[6:7], v[6:7], v[0:1]
	buffer_load_dword v0, off, s[56:59], 0 offset:216 ; 4-byte Folded Reload
	buffer_load_dword v1, off, s[56:59], 0 offset:220 ; 4-byte Folded Reload
	;; [unrolled: 1-line block ×10, first 2 shown]
	s_waitcnt vmcnt(8)
	v_mul_f64 v[6:7], v[0:1], v[6:7]
	s_waitcnt vmcnt(4)
	v_mul_f64 v[22:23], v[22:23], v[22:23]
	;; [unrolled: 2-line block ×3, first 2 shown]
	v_mul_f64 v[6:7], v[44:45], v[6:7]
	v_mul_f64 v[22:23], v[22:23], v[30:31]
	s_waitcnt vmcnt(0)
	v_mul_f64 v[30:31], v[58:59], v[58:59]
	v_mul_f64 v[6:7], v[24:25], v[6:7]
	;; [unrolled: 1-line block ×6, first 2 shown]
	v_div_scale_f64 v[42:43], s[2:3], v[30:31], v[30:31], v[6:7]
	v_rcp_f64_e32 v[56:57], v[42:43]
	v_fma_f64 v[26:27], -v[42:43], v[56:57], 1.0
	v_fma_f64 v[26:27], v[56:57], v[26:27], v[56:57]
	v_fma_f64 v[56:57], -v[42:43], v[26:27], 1.0
	v_fma_f64 v[26:27], v[26:27], v[56:57], v[26:27]
	v_div_scale_f64 v[56:57], vcc, v[6:7], v[30:31], v[6:7]
	v_mul_f64 v[54:55], v[56:57], v[26:27]
	v_fma_f64 v[42:43], -v[42:43], v[54:55], v[56:57]
	s_nop 1
	v_div_fmas_f64 v[26:27], v[42:43], v[26:27], v[54:55]
	v_div_fixup_f64 v[6:7], v[26:27], v[30:31], v[6:7]
	v_add_f64 v[2:3], v[2:3], -v[6:7]
	v_add_f64 v[6:7], v[32:33], v[32:33]
	v_mul_f64 v[6:7], v[6:7], v[16:17]
	buffer_load_dword v16, off, s[56:59], 0 offset:144 ; 4-byte Folded Reload
	buffer_load_dword v17, off, s[56:59], 0 offset:148 ; 4-byte Folded Reload
	s_waitcnt vmcnt(0)
	v_mul_f64 v[6:7], v[16:17], v[6:7]
	v_mul_f64 v[16:17], v[22:23], v[58:59]
	buffer_load_dword v58, off, s[56:59], 0 offset:488 ; 4-byte Folded Reload
	buffer_load_dword v59, off, s[56:59], 0 offset:492 ; 4-byte Folded Reload
	v_mul_f64 v[6:7], v[0:1], v[6:7]
	buffer_load_dword v0, off, s[56:59], 0 offset:480 ; 4-byte Folded Reload
	buffer_load_dword v1, off, s[56:59], 0 offset:484 ; 4-byte Folded Reload
	v_mul_f64 v[6:7], v[44:45], v[6:7]
	v_mul_f64 v[6:7], v[6:7], v[24:25]
	v_mov_b32_e32 v24, v38
	v_mov_b32_e32 v25, v39
	v_mul_f64 v[6:7], v[28:29], v[6:7]
	v_mul_f64 v[6:7], v[14:15], v[6:7]
	;; [unrolled: 1-line block ×3, first 2 shown]
	v_div_scale_f64 v[22:23], s[2:3], v[16:17], v[16:17], v[6:7]
	v_rcp_f64_e32 v[26:27], v[22:23]
	v_fma_f64 v[30:31], -v[22:23], v[26:27], 1.0
	v_fma_f64 v[26:27], v[26:27], v[30:31], v[26:27]
	v_fma_f64 v[30:31], -v[22:23], v[26:27], 1.0
	v_fma_f64 v[26:27], v[26:27], v[30:31], v[26:27]
	v_div_scale_f64 v[30:31], vcc, v[6:7], v[16:17], v[6:7]
	v_mul_f64 v[42:43], v[30:31], v[26:27]
	v_fma_f64 v[22:23], -v[22:23], v[42:43], v[30:31]
	s_nop 1
	v_div_fmas_f64 v[22:23], v[22:23], v[26:27], v[42:43]
	v_div_fixup_f64 v[6:7], v[22:23], v[16:17], v[6:7]
	s_waitcnt vmcnt(2)
	v_mul_f64 v[22:23], v[58:59], v[58:59]
	v_add_f64 v[56:57], v[6:7], v[2:3]
	v_div_scale_f64 v[2:3], s[2:3], v[58:59], v[58:59], v[50:51]
	v_rcp_f64_e32 v[6:7], v[2:3]
	v_fma_f64 v[16:17], -v[2:3], v[6:7], 1.0
	v_fma_f64 v[6:7], v[6:7], v[16:17], v[6:7]
	v_fma_f64 v[16:17], -v[2:3], v[6:7], 1.0
	v_fma_f64 v[16:17], v[6:7], v[16:17], v[6:7]
	v_div_scale_f64 v[6:7], s[2:3], v[50:51], v[58:59], v[50:51]
	s_mov_b64 vcc, s[2:3]
	v_mul_f64 v[26:27], v[6:7], v[16:17]
	v_fma_f64 v[32:33], -v[2:3], v[26:27], v[6:7]
	v_mul_f64 v[6:7], v[50:51], s[4:5]
	v_div_fmas_f64 v[2:3], v[32:33], v[16:17], v[26:27]
	v_mul_f64 v[6:7], v[6:7], v[62:63]
	s_waitcnt vmcnt(0)
	v_mul_f64 v[6:7], v[0:1], v[6:7]
	v_div_fixup_f64 v[2:3], v[2:3], v[58:59], v[50:51]
	v_div_scale_f64 v[30:31], s[4:5], v[22:23], v[22:23], v[6:7]
	v_rcp_f64_e32 v[42:43], v[30:31]
	v_fma_f64 v[50:51], -v[30:31], v[42:43], 1.0
	v_fma_f64 v[42:43], v[42:43], v[50:51], v[42:43]
	v_fma_f64 v[50:51], -v[30:31], v[42:43], 1.0
	v_fma_f64 v[42:43], v[42:43], v[50:51], v[42:43]
	v_div_scale_f64 v[50:51], vcc, v[6:7], v[22:23], v[6:7]
	v_mul_f64 v[54:55], v[50:51], v[42:43]
	v_fma_f64 v[30:31], -v[30:31], v[54:55], v[50:51]
	s_nop 1
	v_div_fmas_f64 v[30:31], v[30:31], v[42:43], v[54:55]
	v_div_fixup_f64 v[6:7], v[30:31], v[22:23], v[6:7]
	v_add_f64 v[6:7], v[2:3], v[6:7]
	buffer_load_dword v0, off, s[56:59], 0 offset:272 ; 4-byte Folded Reload
	buffer_load_dword v1, off, s[56:59], 0 offset:276 ; 4-byte Folded Reload
	;; [unrolled: 1-line block ×4, first 2 shown]
	s_waitcnt vmcnt(0)
	v_mul_f64 v[22:23], v[2:3], v[0:1]
	v_mul_f64 v[2:3], v[10:11], v[10:11]
	buffer_load_dword v0, off, s[56:59], 0 offset:528 ; 4-byte Folded Reload
	buffer_load_dword v1, off, s[56:59], 0 offset:532 ; 4-byte Folded Reload
	s_nop 0
	buffer_store_dword v40, off, s[56:59], 0 offset:64 ; 4-byte Folded Spill
	s_nop 0
	buffer_store_dword v41, off, s[56:59], 0 offset:68 ; 4-byte Folded Spill
	buffer_store_dword v8, off, s[56:59], 0 offset:72 ; 4-byte Folded Spill
	s_nop 0
	buffer_store_dword v9, off, s[56:59], 0 offset:76 ; 4-byte Folded Spill
	v_div_scale_f64 v[30:31], s[4:5], v[2:3], v[2:3], -v[36:37]
	v_rcp_f64_e32 v[42:43], v[30:31]
	v_fma_f64 v[50:51], -v[30:31], v[42:43], 1.0
	v_fma_f64 v[42:43], v[42:43], v[50:51], v[42:43]
	v_fma_f64 v[50:51], -v[30:31], v[42:43], 1.0
	v_fma_f64 v[42:43], v[42:43], v[50:51], v[42:43]
	v_div_scale_f64 v[50:51], vcc, -v[36:37], v[2:3], -v[36:37]
	v_mul_f64 v[54:55], v[50:51], v[42:43]
	v_fma_f64 v[30:31], -v[30:31], v[54:55], v[50:51]
	s_nop 1
	v_div_fmas_f64 v[30:31], v[30:31], v[42:43], v[54:55]
	v_div_fixup_f64 v[50:51], v[30:31], v[2:3], -v[36:37]
	v_div_scale_f64 v[30:31], s[4:5], v[10:11], v[10:11], 1.0
	v_rcp_f64_e32 v[42:43], v[30:31]
	v_fma_f64 v[54:55], -v[30:31], v[42:43], 1.0
	v_fma_f64 v[42:43], v[42:43], v[54:55], v[42:43]
	v_fma_f64 v[54:55], -v[30:31], v[42:43], 1.0
	v_fma_f64 v[42:43], v[42:43], v[54:55], v[42:43]
	v_div_scale_f64 v[54:55], vcc, 1.0, v[10:11], 1.0
	v_mul_f64 v[62:63], v[54:55], v[42:43]
	v_fma_f64 v[30:31], -v[30:31], v[62:63], v[54:55]
	s_nop 1
	v_div_fmas_f64 v[30:31], v[30:31], v[42:43], v[62:63]
	v_div_fixup_f64 v[10:11], v[30:31], v[10:11], 1.0
	v_div_scale_f64 v[30:31], s[4:5], v[2:3], v[2:3], v[36:37]
	s_mov_b32 s4, 0x91bd8c28
	s_mov_b32 s5, 0x3fa2d5de
	s_waitcnt vmcnt(4)
	v_mul_f64 v[0:1], v[0:1], s[4:5]
	s_mov_b32 s4, 0x6acf4366
	s_mov_b32 s5, 0x3f440ed7
	v_rcp_f64_e32 v[42:43], v[30:31]
	v_fma_f64 v[54:55], -v[30:31], v[42:43], 1.0
	v_fma_f64 v[42:43], v[42:43], v[54:55], v[42:43]
	v_fma_f64 v[54:55], -v[30:31], v[42:43], 1.0
	v_fma_f64 v[42:43], v[42:43], v[54:55], v[42:43]
	v_div_scale_f64 v[54:55], vcc, v[36:37], v[2:3], v[36:37]
	v_mul_f64 v[62:63], v[54:55], v[42:43]
	v_fma_f64 v[30:31], -v[30:31], v[62:63], v[54:55]
	s_nop 1
	v_div_fmas_f64 v[30:31], v[30:31], v[42:43], v[62:63]
	v_div_fixup_f64 v[2:3], v[30:31], v[2:3], v[36:37]
	v_add_f64 v[36:37], v[10:11], -v[2:3]
	v_fma_f64 v[2:3], v[40:41], s[4:5], v[0:1]
	v_div_scale_f64 v[10:11], s[4:5], v[4:5], v[4:5], v[2:3]
	v_rcp_f64_e32 v[30:31], v[10:11]
	v_fma_f64 v[42:43], -v[10:11], v[30:31], 1.0
	v_fma_f64 v[30:31], v[30:31], v[42:43], v[30:31]
	v_fma_f64 v[42:43], -v[10:11], v[30:31], 1.0
	v_fma_f64 v[30:31], v[30:31], v[42:43], v[30:31]
	v_div_scale_f64 v[42:43], vcc, v[2:3], v[4:5], v[2:3]
	v_mul_f64 v[54:55], v[42:43], v[30:31]
	v_fma_f64 v[10:11], -v[10:11], v[54:55], v[42:43]
	s_nop 1
	v_div_fmas_f64 v[10:11], v[10:11], v[30:31], v[54:55]
	v_mul_f64 v[30:31], v[4:5], v[4:5]
	v_div_fixup_f64 v[2:3], v[10:11], v[4:5], v[2:3]
	v_mul_f64 v[10:11], v[46:47], 0.5
	v_mul_f64 v[10:11], v[48:49], v[10:11]
	v_div_scale_f64 v[42:43], s[4:5], v[30:31], v[30:31], v[10:11]
	v_rcp_f64_e32 v[46:47], v[42:43]
	v_fma_f64 v[48:49], -v[42:43], v[46:47], 1.0
	v_fma_f64 v[46:47], v[46:47], v[48:49], v[46:47]
	v_fma_f64 v[48:49], -v[42:43], v[46:47], 1.0
	v_fma_f64 v[46:47], v[46:47], v[48:49], v[46:47]
	v_div_scale_f64 v[48:49], vcc, v[10:11], v[30:31], v[10:11]
	v_mul_f64 v[54:55], v[48:49], v[46:47]
	v_fma_f64 v[42:43], -v[42:43], v[54:55], v[48:49]
	s_nop 1
	v_div_fmas_f64 v[42:43], v[42:43], v[46:47], v[54:55]
	v_mul_f64 v[46:47], v[34:35], v[24:25]
	v_mov_b32_e32 v34, 0
	v_div_fixup_f64 v[62:63], v[42:43], v[30:31], v[10:11]
	v_mul_f64 v[10:11], v[8:9], v[36:37]
	buffer_store_dword v10, off, s[56:59], 0 offset:80 ; 4-byte Folded Spill
	s_nop 0
	buffer_store_dword v11, off, s[56:59], 0 offset:84 ; 4-byte Folded Spill
	v_add_f64 v[2:3], v[2:3], v[62:63]
	v_mov_b32_e32 v8, v18
	v_mov_b32_e32 v9, v19
	v_fma_f64 v[42:43], v[2:3], v[50:51], -v[10:11]
	v_mov_b32_e32 v2, 0x3ff00000
	v_cndmask_b32_e64 v35, v2, 0, s[0:1]
	buffer_load_dword v2, off, s[56:59], 0 offset:448 ; 4-byte Folded Reload
	buffer_load_dword v3, off, s[56:59], 0 offset:452 ; 4-byte Folded Reload
	buffer_load_dword v12, off, s[56:59], 0 offset:312 ; 4-byte Folded Reload
	buffer_load_dword v13, off, s[56:59], 0 offset:316 ; 4-byte Folded Reload
	s_mov_b32 s0, 0x7318fc50
	s_mov_b32 s1, 0x3fa212d7
	v_fma_f64 v[30:31], v[8:9], v[42:43], v[46:47]
	s_waitcnt vmcnt(2)
	v_mul_f64 v[10:11], v[60:61], v[2:3]
	v_mul_f64 v[2:3], v[20:21], s[0:1]
	s_waitcnt vmcnt(0)
	v_mul_f64 v[2:3], v[2:3], v[12:13]
	buffer_load_dword v12, off, s[56:59], 0 offset:376 ; 4-byte Folded Reload
	buffer_load_dword v13, off, s[56:59], 0 offset:380 ; 4-byte Folded Reload
	v_div_scale_f64 v[18:19], s[0:1], v[52:53], v[52:53], v[2:3]
	s_mov_b32 s0, 0xb6ae7d56
	s_mov_b32 s1, 0x3f897f62
	v_rcp_f64_e32 v[54:55], v[18:19]
	v_fma_f64 v[38:39], -v[18:19], v[54:55], 1.0
	v_fma_f64 v[38:39], v[54:55], v[38:39], v[54:55]
	v_fma_f64 v[54:55], -v[18:19], v[38:39], 1.0
	v_fma_f64 v[38:39], v[38:39], v[54:55], v[38:39]
	v_div_scale_f64 v[54:55], vcc, v[2:3], v[52:53], v[2:3]
	v_mul_f64 v[48:49], v[54:55], v[38:39]
	v_fma_f64 v[18:19], -v[18:19], v[48:49], v[54:55]
	s_nop 1
	v_div_fmas_f64 v[18:19], v[18:19], v[38:39], v[48:49]
	v_div_fixup_f64 v[2:3], v[18:19], v[52:53], v[2:3]
	v_mul_f64 v[18:19], v[20:21], s[0:1]
	s_waitcnt vmcnt(0)
	v_mul_f64 v[18:19], v[18:19], v[12:13]
	buffer_load_dword v12, off, s[56:59], 0 offset:184 ; 4-byte Folded Reload
	buffer_load_dword v13, off, s[56:59], 0 offset:188 ; 4-byte Folded Reload
	v_div_scale_f64 v[38:39], s[0:1], v[52:53], v[52:53], v[18:19]
	v_rcp_f64_e32 v[48:49], v[38:39]
	v_fma_f64 v[54:55], -v[38:39], v[48:49], 1.0
	v_fma_f64 v[48:49], v[48:49], v[54:55], v[48:49]
	v_fma_f64 v[54:55], -v[38:39], v[48:49], 1.0
	v_fma_f64 v[48:49], v[48:49], v[54:55], v[48:49]
	v_div_scale_f64 v[54:55], vcc, v[18:19], v[52:53], v[18:19]
	v_mul_f64 v[40:41], v[54:55], v[48:49]
	v_fma_f64 v[38:39], -v[38:39], v[40:41], v[54:55]
	s_nop 1
	v_div_fmas_f64 v[38:39], v[38:39], v[48:49], v[40:41]
	v_div_fixup_f64 v[18:19], v[38:39], v[52:53], v[18:19]
	v_add_f64 v[2:3], v[2:3], v[18:19]
	s_waitcnt vmcnt(0)
	v_mul_f64 v[2:3], v[12:13], v[2:3]
	buffer_load_dword v12, off, s[56:59], 0 offset:40 ; 4-byte Folded Reload
	buffer_load_dword v13, off, s[56:59], 0 offset:44 ; 4-byte Folded Reload
	s_waitcnt vmcnt(0)
	v_mul_f64 v[2:3], v[12:13], v[2:3]
	buffer_load_dword v12, off, s[56:59], 0 offset:344 ; 4-byte Folded Reload
	buffer_load_dword v13, off, s[56:59], 0 offset:348 ; 4-byte Folded Reload
	;; [unrolled: 4-line block ×3, first 2 shown]
	s_waitcnt vmcnt(0)
	v_mul_f64 v[18:19], v[12:13], v[18:19]
	v_div_scale_f64 v[38:39], s[0:1], v[18:19], v[18:19], v[2:3]
	v_rcp_f64_e32 v[40:41], v[38:39]
	v_fma_f64 v[48:49], -v[38:39], v[40:41], 1.0
	v_fma_f64 v[40:41], v[40:41], v[48:49], v[40:41]
	v_fma_f64 v[48:49], -v[38:39], v[40:41], 1.0
	v_fma_f64 v[40:41], v[40:41], v[48:49], v[40:41]
	v_div_scale_f64 v[48:49], vcc, v[2:3], v[18:19], v[2:3]
	v_mul_f64 v[54:55], v[48:49], v[40:41]
	v_fma_f64 v[38:39], -v[38:39], v[54:55], v[48:49]
	s_nop 1
	v_div_fmas_f64 v[38:39], v[38:39], v[40:41], v[54:55]
	v_div_fixup_f64 v[18:19], v[38:39], v[18:19], v[2:3]
	buffer_load_dword v2, off, s[56:59], 0 offset:56 ; 4-byte Folded Reload
	buffer_load_dword v3, off, s[56:59], 0 offset:60 ; 4-byte Folded Reload
	;; [unrolled: 1-line block ×6, first 2 shown]
	s_waitcnt vmcnt(4)
	v_mul_f64 v[2:3], v[2:3], v[20:21]
	s_waitcnt vmcnt(2)
	v_mul_f64 v[2:3], v[38:39], v[2:3]
	;; [unrolled: 2-line block ×3, first 2 shown]
	buffer_load_dword v12, off, s[56:59], 0 offset:352 ; 4-byte Folded Reload
	buffer_load_dword v13, off, s[56:59], 0 offset:356 ; 4-byte Folded Reload
	s_waitcnt vmcnt(0)
	v_mul_f64 v[2:3], v[2:3], v[12:13]
	v_div_scale_f64 v[38:39], s[0:1], v[52:53], v[52:53], v[2:3]
	v_rcp_f64_e32 v[40:41], v[38:39]
	v_fma_f64 v[48:49], -v[38:39], v[40:41], 1.0
	v_fma_f64 v[40:41], v[40:41], v[48:49], v[40:41]
	v_fma_f64 v[48:49], -v[38:39], v[40:41], 1.0
	v_fma_f64 v[40:41], v[40:41], v[48:49], v[40:41]
	v_div_scale_f64 v[48:49], vcc, v[2:3], v[52:53], v[2:3]
	v_mul_f64 v[54:55], v[48:49], v[40:41]
	v_fma_f64 v[38:39], -v[38:39], v[54:55], v[48:49]
	s_nop 1
	v_div_fmas_f64 v[38:39], v[38:39], v[40:41], v[54:55]
	v_div_fixup_f64 v[2:3], v[38:39], v[52:53], v[2:3]
	buffer_load_dword v38, off, s[56:59], 0 offset:128 ; 4-byte Folded Reload
	buffer_load_dword v39, off, s[56:59], 0 offset:132 ; 4-byte Folded Reload
	;; [unrolled: 1-line block ×4, first 2 shown]
	s_waitcnt vmcnt(2)
	v_mul_f64 v[38:39], v[38:39], v[20:21]
	s_waitcnt vmcnt(0)
	v_mul_f64 v[38:39], v[12:13], v[38:39]
	buffer_load_dword v12, off, s[56:59], 0 offset:624 ; 4-byte Folded Reload
	buffer_load_dword v13, off, s[56:59], 0 offset:628 ; 4-byte Folded Reload
	;; [unrolled: 1-line block ×6, first 2 shown]
	s_waitcnt vmcnt(4)
	v_mul_f64 v[38:39], v[12:13], v[38:39]
	s_waitcnt vmcnt(2)
	v_mul_f64 v[38:39], v[40:41], v[38:39]
	;; [unrolled: 2-line block ×3, first 2 shown]
	v_div_scale_f64 v[40:41], s[0:1], v[52:53], v[52:53], v[38:39]
	v_rcp_f64_e32 v[48:49], v[40:41]
	v_fma_f64 v[54:55], -v[40:41], v[48:49], 1.0
	v_fma_f64 v[48:49], v[48:49], v[54:55], v[48:49]
	v_fma_f64 v[54:55], -v[40:41], v[48:49], 1.0
	v_fma_f64 v[48:49], v[48:49], v[54:55], v[48:49]
	v_div_scale_f64 v[54:55], vcc, v[38:39], v[52:53], v[38:39]
	v_mul_f64 v[60:61], v[54:55], v[48:49]
	v_fma_f64 v[40:41], -v[40:41], v[60:61], v[54:55]
	s_nop 1
	v_div_fmas_f64 v[40:41], v[40:41], v[48:49], v[60:61]
	buffer_load_dword v60, off, s[56:59], 0 offset:120 ; 4-byte Folded Reload
	buffer_load_dword v61, off, s[56:59], 0 offset:124 ; 4-byte Folded Reload
	;; [unrolled: 1-line block ×4, first 2 shown]
	v_div_fixup_f64 v[38:39], v[40:41], v[52:53], v[38:39]
	v_add_f64 v[2:3], v[2:3], -v[38:39]
	s_waitcnt vmcnt(2)
	v_mul_f64 v[2:3], v[60:61], v[2:3]
	s_waitcnt vmcnt(0)
	v_div_scale_f64 v[38:39], s[0:1], v[28:29], v[28:29], v[2:3]
	v_rcp_f64_e32 v[40:41], v[38:39]
	v_fma_f64 v[48:49], -v[38:39], v[40:41], 1.0
	v_fma_f64 v[40:41], v[40:41], v[48:49], v[40:41]
	v_fma_f64 v[48:49], -v[38:39], v[40:41], 1.0
	v_fma_f64 v[40:41], v[40:41], v[48:49], v[40:41]
	v_div_scale_f64 v[48:49], vcc, v[2:3], v[28:29], v[2:3]
	v_mul_f64 v[54:55], v[48:49], v[40:41]
	v_fma_f64 v[38:39], -v[38:39], v[54:55], v[48:49]
	s_nop 1
	v_div_fmas_f64 v[38:39], v[38:39], v[40:41], v[54:55]
	v_div_fixup_f64 v[2:3], v[38:39], v[28:29], v[2:3]
	v_mul_f64 v[38:39], v[60:61], v[20:21]
	buffer_load_dword v20, off, s[56:59], 0 offset:256 ; 4-byte Folded Reload
	buffer_load_dword v21, off, s[56:59], 0 offset:260 ; 4-byte Folded Reload
	s_waitcnt vmcnt(0)
	v_mul_f64 v[38:39], v[20:21], v[38:39]
	v_mul_f64 v[38:39], v[12:13], v[38:39]
	buffer_load_dword v12, off, s[56:59], 0 offset:656 ; 4-byte Folded Reload
	buffer_load_dword v13, off, s[56:59], 0 offset:660 ; 4-byte Folded Reload
	s_waitcnt vmcnt(0)
	v_mul_f64 v[38:39], v[38:39], v[12:13]
	buffer_load_dword v12, off, s[56:59], 0 offset:640 ; 4-byte Folded Reload
	buffer_load_dword v13, off, s[56:59], 0 offset:644 ; 4-byte Folded Reload
	v_mul_f64 v[38:39], v[14:15], v[38:39]
	s_waitcnt vmcnt(0)
	v_mul_f64 v[40:41], v[12:13], v[12:13]
	buffer_load_dword v12, off, s[56:59], 0 offset:632 ; 4-byte Folded Reload
	buffer_load_dword v13, off, s[56:59], 0 offset:636 ; 4-byte Folded Reload
	v_mul_f64 v[20:21], v[52:53], v[40:41]
	s_waitcnt vmcnt(0)
	v_mul_f64 v[20:21], v[12:13], v[20:21]
	buffer_load_dword v12, off, s[56:59], 0 offset:664 ; 4-byte Folded Reload
	buffer_load_dword v13, off, s[56:59], 0 offset:668 ; 4-byte Folded Reload
	s_waitcnt vmcnt(0)
	v_mul_f64 v[20:21], v[12:13], v[20:21]
	v_div_scale_f64 v[40:41], s[0:1], v[20:21], v[20:21], v[38:39]
	s_mov_b32 s0, 0xe2308c3a
	s_mov_b32 s1, 0x3e45798e
	v_rcp_f64_e32 v[48:49], v[40:41]
	v_fma_f64 v[54:55], -v[40:41], v[48:49], 1.0
	v_fma_f64 v[48:49], v[48:49], v[54:55], v[48:49]
	v_fma_f64 v[54:55], -v[40:41], v[48:49], 1.0
	v_fma_f64 v[48:49], v[48:49], v[54:55], v[48:49]
	v_div_scale_f64 v[54:55], vcc, v[38:39], v[20:21], v[38:39]
	v_mul_f64 v[60:61], v[54:55], v[48:49]
	v_fma_f64 v[40:41], -v[40:41], v[60:61], v[54:55]
	s_nop 1
	v_div_fmas_f64 v[40:41], v[40:41], v[48:49], v[60:61]
	v_div_fixup_f64 v[20:21], v[40:41], v[20:21], v[38:39]
	v_add_f64 v[2:3], v[2:3], -v[20:21]
	buffer_load_dword v20, off, s[56:59], 0 offset:104 ; 4-byte Folded Reload
	buffer_load_dword v21, off, s[56:59], 0 offset:108 ; 4-byte Folded Reload
	;; [unrolled: 1-line block ×6, first 2 shown]
	s_waitcnt vmcnt(2)
	v_add_f64 v[20:21], -v[38:39], -v[20:21]
	v_add_f64 v[20:21], v[20:21], -v[30:31]
	s_waitcnt vmcnt(0)
	v_fma_f64 v[20:21], -v[12:13], v[10:11], v[20:21]
	buffer_load_dword v12, off, s[56:59], 0 offset:240 ; 4-byte Folded Reload
	buffer_load_dword v13, off, s[56:59], 0 offset:244 ; 4-byte Folded Reload
	;; [unrolled: 1-line block ×4, first 2 shown]
	s_waitcnt vmcnt(0)
	v_fma_f64 v[20:21], -v[14:15], v[12:13], v[20:21]
	v_add_f64 v[2:3], v[20:21], -v[2:3]
	v_add_f64 v[2:3], v[2:3], -v[18:19]
	buffer_load_dword v18, off, s[56:59], 0 offset:48 ; 4-byte Folded Reload
	buffer_load_dword v19, off, s[56:59], 0 offset:52 ; 4-byte Folded Reload
	;; [unrolled: 1-line block ×4, first 2 shown]
	s_waitcnt vmcnt(0)
	v_fma_f64 v[2:3], -v[18:19], v[12:13], v[2:3]
	v_add_f64 v[2:3], v[2:3], -v[6:7]
	buffer_load_dword v6, off, s[56:59], 0  ; 4-byte Folded Reload
	buffer_load_dword v7, off, s[56:59], 0 offset:4 ; 4-byte Folded Reload
	s_waitcnt vmcnt(0)
	v_fma_f64 v[2:3], -v[6:7], v[22:23], v[2:3]
	v_fma_f64 v[2:3], -v[8:9], v[42:43], v[2:3]
	;; [unrolled: 1-line block ×3, first 2 shown]
                                        ; implicit-def: $vgpr2_vgpr3
	v_cmp_ngt_f64_e64 s[0:1], |v[6:7]|, s[0:1]
	s_and_saveexec_b64 s[4:5], s[0:1]
	s_xor_b64 s[0:1], exec, s[4:5]
	s_cbranch_execz .LBB0_79
; %bb.78:
	buffer_load_dword v2, off, s[56:59], 0 offset:432 ; 4-byte Folded Reload
	buffer_load_dword v3, off, s[56:59], 0 offset:436 ; 4-byte Folded Reload
                                        ; implicit-def: $vgpr6_vgpr7
                                        ; implicit-def: $vgpr12_vgpr13
                                        ; kill: killed $vgpr12_vgpr13
	s_waitcnt vmcnt(0)
	v_mul_f64 v[2:3], s[16:17], v[2:3]
.LBB0_79:
	s_or_saveexec_b64 s[4:5], s[0:1]
	buffer_load_dword v18, off, s[56:59], 0 ; 4-byte Folded Reload
	buffer_load_dword v19, off, s[56:59], 0 offset:4 ; 4-byte Folded Reload
	buffer_load_dword v12, off, s[56:59], 0 offset:320 ; 4-byte Folded Reload
	;; [unrolled: 1-line block ×3, first 2 shown]
	v_mul_f64 v[14:15], v[8:9], v[24:25]
	s_waitcnt vmcnt(0)
	v_mul_f64 v[18:19], v[18:19], v[12:13]
	buffer_load_dword v52, off, s[56:59], 0 offset:408 ; 4-byte Folded Reload
	buffer_load_dword v53, off, s[56:59], 0 offset:412 ; 4-byte Folded Reload
	;; [unrolled: 1-line block ×4, first 2 shown]
	s_waitcnt vmcnt(0)
	v_mul_f64 v[20:21], v[52:53], v[12:13]
	buffer_load_dword v34, off, s[56:59], 0 offset:8 ; 4-byte Folded Reload
	buffer_load_dword v35, off, s[56:59], 0 offset:12 ; 4-byte Folded Reload
	;; [unrolled: 1-line block ×4, first 2 shown]
	s_waitcnt vmcnt(2)
	v_mul_f64 v[10:11], v[34:35], v[10:11]
	s_waitcnt vmcnt(0)
	v_mul_f64 v[30:31], v[34:35], v[12:13]
	s_xor_b64 exec, exec, s[4:5]
	s_cbranch_execz .LBB0_81
; %bb.80:
	v_mul_f64 v[2:3], s[16:17], v[6:7]
	s_mov_b32 s0, 0x652b82fe
	s_mov_b32 s1, 0x3ff71547
	v_mov_b32_e32 v40, 0xfca7ab0c
	v_mov_b32_e32 v41, 0x3e928af3
	buffer_load_dword v12, off, s[56:59], 0 offset:432 ; 4-byte Folded Reload
	buffer_load_dword v13, off, s[56:59], 0 offset:436 ; 4-byte Folded Reload
	s_mov_b32 s6, 0
	s_mov_b32 s7, 0xc090cc00
	v_mul_f64 v[34:35], v[2:3], s[0:1]
	s_mov_b32 s0, 0xfefa39ef
	s_mov_b32 s1, 0xbfe62e42
	v_rndne_f64_e32 v[34:35], v[34:35]
	v_fma_f64 v[38:39], v[34:35], s[0:1], v[2:3]
	s_mov_b32 s0, 0x3b39803f
	s_mov_b32 s1, 0xbc7abc9e
	v_fma_f64 v[38:39], v[34:35], s[0:1], v[38:39]
	s_mov_b32 s0, 0x6a5dcb37
	s_mov_b32 s1, 0x3e5ade15
	v_cvt_i32_f64_e32 v34, v[34:35]
	v_fma_f64 v[40:41], v[38:39], s[0:1], v[40:41]
	s_mov_b32 s0, 0x623fde64
	s_mov_b32 s1, 0x3ec71dee
	v_fma_f64 v[40:41], v[38:39], v[40:41], s[0:1]
	s_mov_b32 s0, 0x7c89e6b0
	s_mov_b32 s1, 0x3efa0199
	;; [unrolled: 3-line block ×9, first 2 shown]
	v_cmp_nlt_f64_e32 vcc, s[0:1], v[2:3]
	v_cmp_ngt_f64_e64 s[0:1], s[6:7], v[2:3]
	v_fma_f64 v[40:41], v[38:39], v[40:41], 1.0
	v_fma_f64 v[38:39], v[38:39], v[40:41], 1.0
	v_ldexp_f64 v[34:35], v[38:39], v34
	v_mov_b32_e32 v38, 0x7ff00000
	v_mov_b32_e32 v39, 0xbff00000
	v_add_f64 v[34:35], v[34:35], -1.0
	v_cndmask_b32_e32 v35, v38, v35, vcc
	s_and_b64 vcc, s[0:1], vcc
	v_cndmask_b32_e64 v3, v39, v35, s[0:1]
	v_cndmask_b32_e32 v2, 0, v34, vcc
	s_waitcnt vmcnt(0)
	v_mul_f64 v[2:3], v[12:13], v[2:3]
	v_div_scale_f64 v[34:35], s[0:1], v[6:7], v[6:7], v[2:3]
	v_div_scale_f64 v[42:43], vcc, v[2:3], v[6:7], v[2:3]
	v_rcp_f64_e32 v[38:39], v[34:35]
	v_fma_f64 v[40:41], -v[34:35], v[38:39], 1.0
	v_fma_f64 v[38:39], v[38:39], v[40:41], v[38:39]
	v_fma_f64 v[40:41], -v[34:35], v[38:39], 1.0
	v_fma_f64 v[38:39], v[38:39], v[40:41], v[38:39]
	v_mul_f64 v[40:41], v[42:43], v[38:39]
	v_fma_f64 v[34:35], -v[34:35], v[40:41], v[42:43]
	v_div_fmas_f64 v[34:35], v[34:35], v[38:39], v[40:41]
	v_div_fixup_f64 v[2:3], v[34:35], v[6:7], v[2:3]
.LBB0_81:
	s_or_b64 exec, exec, s[4:5]
	buffer_load_dword v12, off, s[56:59], 0 offset:368 ; 4-byte Folded Reload
	buffer_load_dword v13, off, s[56:59], 0 offset:372 ; 4-byte Folded Reload
	v_add_f64 v[6:7], -v[14:15], -v[30:31]
	v_add_f64 v[6:7], v[6:7], -v[20:21]
	s_waitcnt vmcnt(0)
	v_add_f64 v[6:7], v[6:7], -v[12:13]
	buffer_load_dword v12, off, s[56:59], 0 offset:296 ; 4-byte Folded Reload
	buffer_load_dword v13, off, s[56:59], 0 offset:300 ; 4-byte Folded Reload
	s_waitcnt vmcnt(0)
	v_add_f64 v[6:7], v[6:7], -v[12:13]
	buffer_load_dword v12, off, s[56:59], 0 offset:168 ; 4-byte Folded Reload
	buffer_load_dword v13, off, s[56:59], 0 offset:172 ; 4-byte Folded Reload
	;; [unrolled: 1-line block ×6, first 2 shown]
	v_add_f64 v[6:7], v[6:7], -v[18:19]
	s_waitcnt vmcnt(4)
	v_fma_f64 v[6:7], v[12:13], 2.0, v[6:7]
	buffer_load_dword v40, off, s[56:59], 0 offset:16 ; 4-byte Folded Reload
	buffer_load_dword v41, off, s[56:59], 0 offset:20 ; 4-byte Folded Reload
	;; [unrolled: 1-line block ×4, first 2 shown]
	s_waitcnt vmcnt(6)
	v_mul_f64 v[6:7], v[48:49], v[6:7]
	s_waitcnt vmcnt(4)
	v_div_scale_f64 v[14:15], s[0:1], v[44:45], v[44:45], v[6:7]
	v_rcp_f64_e32 v[18:19], v[14:15]
	v_fma_f64 v[20:21], -v[14:15], v[18:19], 1.0
	v_fma_f64 v[18:19], v[18:19], v[20:21], v[18:19]
	v_fma_f64 v[20:21], -v[14:15], v[18:19], 1.0
	v_fma_f64 v[18:19], v[18:19], v[20:21], v[18:19]
	v_div_scale_f64 v[20:21], vcc, v[6:7], v[44:45], v[6:7]
	v_mul_f64 v[24:25], v[20:21], v[18:19]
	v_fma_f64 v[14:15], -v[14:15], v[24:25], v[20:21]
	s_nop 1
	v_div_fmas_f64 v[14:15], v[14:15], v[18:19], v[24:25]
	s_waitcnt vmcnt(0)
	v_mul_f64 v[18:19], v[12:13], v[40:41]
	buffer_load_dword v12, off, s[56:59], 0 offset:304 ; 4-byte Folded Reload
	buffer_load_dword v13, off, s[56:59], 0 offset:308 ; 4-byte Folded Reload
	s_waitcnt vmcnt(0)
	v_div_scale_f64 v[20:21], s[0:1], v[18:19], v[18:19], v[12:13]
	s_mov_b32 s0, 0x6acf4366
	s_mov_b32 s1, 0xbf440ed7
	v_rcp_f64_e32 v[24:25], v[20:21]
	v_fma_f64 v[30:31], -v[20:21], v[24:25], 1.0
	v_fma_f64 v[24:25], v[24:25], v[30:31], v[24:25]
	v_fma_f64 v[30:31], -v[20:21], v[24:25], 1.0
	v_fma_f64 v[24:25], v[24:25], v[30:31], v[24:25]
	v_div_scale_f64 v[30:31], vcc, v[12:13], v[18:19], v[12:13]
	v_mul_f64 v[34:35], v[30:31], v[24:25]
	v_fma_f64 v[20:21], -v[20:21], v[34:35], v[30:31]
	s_nop 1
	v_div_fmas_f64 v[20:21], v[20:21], v[24:25], v[34:35]
	buffer_load_dword v24, off, s[56:59], 0 offset:64 ; 4-byte Folded Reload
	buffer_load_dword v25, off, s[56:59], 0 offset:68 ; 4-byte Folded Reload
	s_waitcnt vmcnt(0)
	v_fma_f64 v[24:25], v[24:25], s[0:1], -v[0:1]
	v_div_scale_f64 v[28:29], s[0:1], v[4:5], v[4:5], v[24:25]
	v_rcp_f64_e32 v[30:31], v[28:29]
	v_fma_f64 v[34:35], -v[28:29], v[30:31], 1.0
	v_fma_f64 v[30:31], v[30:31], v[34:35], v[30:31]
	v_fma_f64 v[34:35], -v[28:29], v[30:31], 1.0
	v_fma_f64 v[30:31], v[30:31], v[34:35], v[30:31]
	v_div_scale_f64 v[34:35], vcc, v[24:25], v[4:5], v[24:25]
	v_mul_f64 v[38:39], v[34:35], v[30:31]
	v_fma_f64 v[28:29], -v[28:29], v[38:39], v[34:35]
	s_nop 1
	v_div_fmas_f64 v[28:29], v[28:29], v[30:31], v[38:39]
	buffer_load_dword v30, off, s[56:59], 0 offset:96 ; 4-byte Folded Reload
	buffer_load_dword v31, off, s[56:59], 0 offset:100 ; 4-byte Folded Reload
	;; [unrolled: 1-line block ×4, first 2 shown]
	v_div_fixup_f64 v[4:5], v[28:29], v[4:5], v[24:25]
	v_add_f64 v[4:5], v[4:5], -v[62:63]
	s_waitcnt vmcnt(2)
	v_mul_f64 v[30:31], v[30:31], v[40:41]
	v_div_scale_f64 v[34:35], s[0:1], v[30:31], v[30:31], v[12:13]
	v_rcp_f64_e32 v[38:39], v[34:35]
	v_fma_f64 v[40:41], -v[34:35], v[38:39], 1.0
	v_fma_f64 v[38:39], v[38:39], v[40:41], v[38:39]
	v_fma_f64 v[40:41], -v[34:35], v[38:39], 1.0
	v_fma_f64 v[38:39], v[38:39], v[40:41], v[38:39]
	v_div_scale_f64 v[40:41], vcc, v[12:13], v[30:31], v[12:13]
	v_mul_f64 v[42:43], v[40:41], v[38:39]
	v_fma_f64 v[34:35], -v[34:35], v[42:43], v[40:41]
	s_nop 1
	v_div_fmas_f64 v[34:35], v[34:35], v[38:39], v[42:43]
	s_mov_b64 vcc, s[2:3]
	v_div_fmas_f64 v[16:17], v[32:33], v[16:17], v[26:27]
	v_div_fixup_f64 v[24:25], v[34:35], v[30:31], v[12:13]
	v_mul_f64 v[28:29], v[24:25], v[4:5]
	s_waitcnt vmcnt(0)
	v_fma_f64 v[4:5], v[4:5], v[50:51], v[0:1]
	buffer_load_dword v0, off, s[56:59], 0 offset:72 ; 4-byte Folded Reload
	buffer_load_dword v1, off, s[56:59], 0 offset:76 ; 4-byte Folded Reload
	v_mul_f64 v[28:29], v[50:51], v[28:29]
	v_fma_f64 v[4:5], v[8:9], v[4:5], -v[46:47]
	v_mul_f64 v[4:5], v[24:25], v[4:5]
	s_waitcnt vmcnt(0)
	v_mul_f64 v[30:31], v[24:25], v[0:1]
	v_div_fixup_f64 v[0:1], v[14:15], v[44:45], v[6:7]
	v_fma_f64 v[26:27], v[30:31], v[36:37], v[28:29]
	v_fma_f64 v[4:5], v[8:9], -v[26:27], -v[4:5]
	buffer_load_dword v8, off, s[56:59], 0 offset:232 ; 4-byte Folded Reload
	buffer_load_dword v9, off, s[56:59], 0 offset:236 ; 4-byte Folded Reload
	v_fma_f64 v[4:5], v[24:25], v[10:11], v[4:5]
	buffer_load_dword v10, off, s[56:59], 0 ; 4-byte Folded Reload
	buffer_load_dword v11, off, s[56:59], 0 offset:4 ; 4-byte Folded Reload
	s_waitcnt vmcnt(2)
	v_div_fixup_f64 v[8:9], v[16:17], v[58:59], v[8:9]
	s_waitcnt vmcnt(0)
	v_mul_f64 v[10:11], v[10:11], v[22:23]
	v_fma_f64 v[4:5], v[8:9], v[24:25], v[4:5]
	v_div_fixup_f64 v[8:9], v[20:21], v[18:19], v[12:13]
	v_fma_f64 v[4:5], v[10:11], v[24:25], v[4:5]
	v_fma_f64 v[4:5], v[52:53], v[8:9], v[4:5]
	v_mul_f64 v[4:5], v[48:49], v[4:5]
	v_div_scale_f64 v[8:9], s[0:1], v[44:45], v[44:45], v[4:5]
	v_div_scale_f64 v[16:17], vcc, v[4:5], v[44:45], v[4:5]
	s_mov_b32 s0, 0xe2308c3a
	s_mov_b32 s1, 0x3e45798e
	v_rcp_f64_e32 v[10:11], v[8:9]
	v_fma_f64 v[12:13], -v[8:9], v[10:11], 1.0
	v_fma_f64 v[10:11], v[10:11], v[12:13], v[10:11]
	v_fma_f64 v[12:13], -v[8:9], v[10:11], 1.0
	v_fma_f64 v[10:11], v[10:11], v[12:13], v[10:11]
	v_mul_f64 v[12:13], v[16:17], v[10:11]
	v_fma_f64 v[8:9], -v[8:9], v[12:13], v[16:17]
	v_div_fmas_f64 v[8:9], v[8:9], v[10:11], v[12:13]
	v_div_fixup_f64 v[4:5], v[8:9], v[44:45], v[4:5]
	buffer_load_dword v8, off, s[56:59], 0 offset:24 ; 4-byte Folded Reload
	buffer_load_dword v9, off, s[56:59], 0 offset:28 ; 4-byte Folded Reload
	;; [unrolled: 1-line block ×4, first 2 shown]
	v_cmp_ngt_f64_e64 s[0:1], |v[4:5]|, s[0:1]
	s_waitcnt vmcnt(2)
	v_add_f64 v[2:3], v[8:9], v[2:3]
	s_waitcnt vmcnt(0)
	global_store_dwordx2 v[6:7], v[2:3], off
                                        ; implicit-def: $vgpr2_vgpr3
	s_and_saveexec_b64 s[2:3], s[0:1]
	s_xor_b64 s[0:1], exec, s[2:3]
; %bb.82:
	v_mul_f64 v[2:3], s[16:17], v[0:1]
                                        ; implicit-def: $vgpr4_vgpr5
                                        ; implicit-def: $vgpr0_vgpr1
; %bb.83:
	s_andn2_saveexec_b64 s[2:3], s[0:1]
	s_cbranch_execz .LBB0_85
; %bb.84:
	v_mul_f64 v[2:3], s[16:17], v[4:5]
	s_mov_b32 s0, 0x652b82fe
	s_mov_b32 s1, 0x3ff71547
	v_mov_b32_e32 v10, 0xfca7ab0c
	v_mov_b32_e32 v11, 0x3e928af3
	s_mov_b32 s4, 0
	s_mov_b32 s5, 0xc090cc00
	v_mul_f64 v[6:7], v[2:3], s[0:1]
	s_mov_b32 s0, 0xfefa39ef
	s_mov_b32 s1, 0xbfe62e42
	v_rndne_f64_e32 v[6:7], v[6:7]
	v_fma_f64 v[8:9], v[6:7], s[0:1], v[2:3]
	s_mov_b32 s0, 0x3b39803f
	s_mov_b32 s1, 0xbc7abc9e
	v_fma_f64 v[8:9], v[6:7], s[0:1], v[8:9]
	s_mov_b32 s0, 0x6a5dcb37
	s_mov_b32 s1, 0x3e5ade15
	v_cvt_i32_f64_e32 v6, v[6:7]
	v_fma_f64 v[10:11], v[8:9], s[0:1], v[10:11]
	s_mov_b32 s0, 0x623fde64
	s_mov_b32 s1, 0x3ec71dee
	v_fma_f64 v[10:11], v[8:9], v[10:11], s[0:1]
	s_mov_b32 s0, 0x7c89e6b0
	s_mov_b32 s1, 0x3efa0199
	v_fma_f64 v[10:11], v[8:9], v[10:11], s[0:1]
	s_mov_b32 s0, 0x14761f6e
	s_mov_b32 s1, 0x3f2a01a0
	v_fma_f64 v[10:11], v[8:9], v[10:11], s[0:1]
	s_mov_b32 s0, 0x1852b7b0
	s_mov_b32 s1, 0x3f56c16c
	v_fma_f64 v[10:11], v[8:9], v[10:11], s[0:1]
	s_mov_b32 s0, 0x11122322
	s_mov_b32 s1, 0x3f811111
	v_fma_f64 v[10:11], v[8:9], v[10:11], s[0:1]
	s_mov_b32 s0, 0x555502a1
	s_mov_b32 s1, 0x3fa55555
	v_fma_f64 v[10:11], v[8:9], v[10:11], s[0:1]
	s_mov_b32 s0, 0x55555511
	s_mov_b32 s1, 0x3fc55555
	v_fma_f64 v[10:11], v[8:9], v[10:11], s[0:1]
	s_mov_b32 s0, 11
	s_mov_b32 s1, 0x3fe00000
	v_fma_f64 v[10:11], v[8:9], v[10:11], s[0:1]
	s_mov_b32 s0, 0
	s_mov_b32 s1, 0x40900000
	v_cmp_nlt_f64_e32 vcc, s[0:1], v[2:3]
	v_cmp_ngt_f64_e64 s[0:1], s[4:5], v[2:3]
	v_fma_f64 v[10:11], v[8:9], v[10:11], 1.0
	v_fma_f64 v[8:9], v[8:9], v[10:11], 1.0
	v_ldexp_f64 v[6:7], v[8:9], v6
	v_mov_b32_e32 v8, 0x7ff00000
	v_mov_b32_e32 v9, 0xbff00000
	v_add_f64 v[6:7], v[6:7], -1.0
	v_cndmask_b32_e32 v7, v8, v7, vcc
	s_and_b64 vcc, s[0:1], vcc
	v_cndmask_b32_e64 v3, v9, v7, s[0:1]
	v_cndmask_b32_e32 v2, 0, v6, vcc
	v_mul_f64 v[0:1], v[0:1], v[2:3]
	v_div_scale_f64 v[2:3], s[0:1], v[4:5], v[4:5], v[0:1]
	v_div_scale_f64 v[10:11], vcc, v[0:1], v[4:5], v[0:1]
	v_rcp_f64_e32 v[6:7], v[2:3]
	v_fma_f64 v[8:9], -v[2:3], v[6:7], 1.0
	v_fma_f64 v[6:7], v[6:7], v[8:9], v[6:7]
	v_fma_f64 v[8:9], -v[2:3], v[6:7], 1.0
	v_fma_f64 v[6:7], v[6:7], v[8:9], v[6:7]
	v_mul_f64 v[8:9], v[10:11], v[6:7]
	v_fma_f64 v[2:3], -v[2:3], v[8:9], v[10:11]
	v_div_fmas_f64 v[2:3], v[2:3], v[6:7], v[8:9]
	v_div_fixup_f64 v[2:3], v[2:3], v[4:5], v[0:1]
.LBB0_85:
	s_or_b64 exec, exec, s[2:3]
	buffer_load_dword v0, off, s[56:59], 0 offset:96 ; 4-byte Folded Reload
	buffer_load_dword v1, off, s[56:59], 0 offset:100 ; 4-byte Folded Reload
	s_waitcnt vmcnt(0)
	v_add_f64 v[0:1], v[0:1], v[2:3]
	buffer_load_dword v2, off, s[56:59], 0 offset:400 ; 4-byte Folded Reload
	buffer_load_dword v3, off, s[56:59], 0 offset:404 ; 4-byte Folded Reload
	s_waitcnt vmcnt(0)
	global_store_dwordx2 v[2:3], v[0:1], off
.LBB0_86:
	s_endpgm
	.section	.rodata,"a",@progbits
	.p2align	6, 0x0
	.amdhsa_kernel _Z21k_forward_rush_larsenPdddPKdi
		.amdhsa_group_segment_fixed_size 0
		.amdhsa_private_segment_fixed_size 740
		.amdhsa_kernarg_size 296
		.amdhsa_user_sgpr_count 6
		.amdhsa_user_sgpr_private_segment_buffer 1
		.amdhsa_user_sgpr_dispatch_ptr 0
		.amdhsa_user_sgpr_queue_ptr 0
		.amdhsa_user_sgpr_kernarg_segment_ptr 1
		.amdhsa_user_sgpr_dispatch_id 0
		.amdhsa_user_sgpr_flat_scratch_init 0
		.amdhsa_user_sgpr_private_segment_size 0
		.amdhsa_uses_dynamic_stack 0
		.amdhsa_system_sgpr_private_segment_wavefront_offset 1
		.amdhsa_system_sgpr_workgroup_id_x 1
		.amdhsa_system_sgpr_workgroup_id_y 0
		.amdhsa_system_sgpr_workgroup_id_z 0
		.amdhsa_system_sgpr_workgroup_info 0
		.amdhsa_system_vgpr_workitem_id 0
		.amdhsa_next_free_vgpr 64
		.amdhsa_next_free_sgpr 60
		.amdhsa_reserve_vcc 1
		.amdhsa_reserve_flat_scratch 0
		.amdhsa_float_round_mode_32 0
		.amdhsa_float_round_mode_16_64 0
		.amdhsa_float_denorm_mode_32 3
		.amdhsa_float_denorm_mode_16_64 3
		.amdhsa_dx10_clamp 1
		.amdhsa_ieee_mode 1
		.amdhsa_fp16_overflow 0
		.amdhsa_exception_fp_ieee_invalid_op 0
		.amdhsa_exception_fp_denorm_src 0
		.amdhsa_exception_fp_ieee_div_zero 0
		.amdhsa_exception_fp_ieee_overflow 0
		.amdhsa_exception_fp_ieee_underflow 0
		.amdhsa_exception_fp_ieee_inexact 0
		.amdhsa_exception_int_div_zero 0
	.end_amdhsa_kernel
	.text
.Lfunc_end0:
	.size	_Z21k_forward_rush_larsenPdddPKdi, .Lfunc_end0-_Z21k_forward_rush_larsenPdddPKdi
                                        ; -- End function
	.set _Z21k_forward_rush_larsenPdddPKdi.num_vgpr, 64
	.set _Z21k_forward_rush_larsenPdddPKdi.num_agpr, 0
	.set _Z21k_forward_rush_larsenPdddPKdi.numbered_sgpr, 60
	.set _Z21k_forward_rush_larsenPdddPKdi.num_named_barrier, 0
	.set _Z21k_forward_rush_larsenPdddPKdi.private_seg_size, 740
	.set _Z21k_forward_rush_larsenPdddPKdi.uses_vcc, 1
	.set _Z21k_forward_rush_larsenPdddPKdi.uses_flat_scratch, 0
	.set _Z21k_forward_rush_larsenPdddPKdi.has_dyn_sized_stack, 0
	.set _Z21k_forward_rush_larsenPdddPKdi.has_recursion, 0
	.set _Z21k_forward_rush_larsenPdddPKdi.has_indirect_call, 0
	.section	.AMDGPU.csdata,"",@progbits
; Kernel info:
; codeLenInByte = 59568
; TotalNumSgprs: 64
; NumVgprs: 64
; ScratchSize: 740
; MemoryBound: 0
; FloatMode: 240
; IeeeMode: 1
; LDSByteSize: 0 bytes/workgroup (compile time only)
; SGPRBlocks: 7
; VGPRBlocks: 15
; NumSGPRsForWavesPerEU: 64
; NumVGPRsForWavesPerEU: 64
; Occupancy: 4
; WaveLimiterHint : 0
; COMPUTE_PGM_RSRC2:SCRATCH_EN: 1
; COMPUTE_PGM_RSRC2:USER_SGPR: 6
; COMPUTE_PGM_RSRC2:TRAP_HANDLER: 0
; COMPUTE_PGM_RSRC2:TGID_X_EN: 1
; COMPUTE_PGM_RSRC2:TGID_Y_EN: 0
; COMPUTE_PGM_RSRC2:TGID_Z_EN: 0
; COMPUTE_PGM_RSRC2:TIDIG_COMP_CNT: 0
	.section	.AMDGPU.gpr_maximums,"",@progbits
	.set amdgpu.max_num_vgpr, 0
	.set amdgpu.max_num_agpr, 0
	.set amdgpu.max_num_sgpr, 0
	.section	.AMDGPU.csdata,"",@progbits
	.type	__hip_cuid_2fd515ce6a3bef6a,@object ; @__hip_cuid_2fd515ce6a3bef6a
	.section	.bss,"aw",@nobits
	.globl	__hip_cuid_2fd515ce6a3bef6a
__hip_cuid_2fd515ce6a3bef6a:
	.byte	0                               ; 0x0
	.size	__hip_cuid_2fd515ce6a3bef6a, 1

	.ident	"AMD clang version 22.0.0git (https://github.com/RadeonOpenCompute/llvm-project roc-7.2.4 26084 f58b06dce1f9c15707c5f808fd002e18c2accf7e)"
	.section	".note.GNU-stack","",@progbits
	.addrsig
	.addrsig_sym __hip_cuid_2fd515ce6a3bef6a
	.amdgpu_metadata
---
amdhsa.kernels:
  - .args:
      - .address_space:  global
        .offset:         0
        .size:           8
        .value_kind:     global_buffer
      - .offset:         8
        .size:           8
        .value_kind:     by_value
      - .offset:         16
        .size:           8
        .value_kind:     by_value
      - .address_space:  global
        .offset:         24
        .size:           8
        .value_kind:     global_buffer
      - .offset:         32
        .size:           4
        .value_kind:     by_value
      - .offset:         40
        .size:           4
        .value_kind:     hidden_block_count_x
      - .offset:         44
        .size:           4
        .value_kind:     hidden_block_count_y
      - .offset:         48
        .size:           4
        .value_kind:     hidden_block_count_z
      - .offset:         52
        .size:           2
        .value_kind:     hidden_group_size_x
      - .offset:         54
        .size:           2
        .value_kind:     hidden_group_size_y
      - .offset:         56
        .size:           2
        .value_kind:     hidden_group_size_z
      - .offset:         58
        .size:           2
        .value_kind:     hidden_remainder_x
      - .offset:         60
        .size:           2
        .value_kind:     hidden_remainder_y
      - .offset:         62
        .size:           2
        .value_kind:     hidden_remainder_z
      - .offset:         80
        .size:           8
        .value_kind:     hidden_global_offset_x
      - .offset:         88
        .size:           8
        .value_kind:     hidden_global_offset_y
      - .offset:         96
        .size:           8
        .value_kind:     hidden_global_offset_z
      - .offset:         104
        .size:           2
        .value_kind:     hidden_grid_dims
    .group_segment_fixed_size: 0
    .kernarg_segment_align: 8
    .kernarg_segment_size: 296
    .language:       OpenCL C
    .language_version:
      - 2
      - 0
    .max_flat_workgroup_size: 1024
    .name:           _Z21k_forward_rush_larsenPdddPKdi
    .private_segment_fixed_size: 740
    .sgpr_count:     64
    .sgpr_spill_count: 0
    .symbol:         _Z21k_forward_rush_larsenPdddPKdi.kd
    .uniform_work_group_size: 1
    .uses_dynamic_stack: false
    .vgpr_count:     64
    .vgpr_spill_count: 359
    .wavefront_size: 64
amdhsa.target:   amdgcn-amd-amdhsa--gfx906
amdhsa.version:
  - 1
  - 2
...

	.end_amdgpu_metadata
